;; amdgpu-corpus repo=ROCm/rocFFT kind=compiled arch=gfx906 opt=O3
	.text
	.amdgcn_target "amdgcn-amd-amdhsa--gfx906"
	.amdhsa_code_object_version 6
	.protected	fft_rtc_back_len1156_factors_17_2_17_2_wgs_204_tpt_68_halfLds_sp_ip_CI_sbrr_dirReg ; -- Begin function fft_rtc_back_len1156_factors_17_2_17_2_wgs_204_tpt_68_halfLds_sp_ip_CI_sbrr_dirReg
	.globl	fft_rtc_back_len1156_factors_17_2_17_2_wgs_204_tpt_68_halfLds_sp_ip_CI_sbrr_dirReg
	.p2align	8
	.type	fft_rtc_back_len1156_factors_17_2_17_2_wgs_204_tpt_68_halfLds_sp_ip_CI_sbrr_dirReg,@function
fft_rtc_back_len1156_factors_17_2_17_2_wgs_204_tpt_68_halfLds_sp_ip_CI_sbrr_dirReg: ; @fft_rtc_back_len1156_factors_17_2_17_2_wgs_204_tpt_68_halfLds_sp_ip_CI_sbrr_dirReg
; %bb.0:
	s_load_dwordx2 s[2:3], s[4:5], 0x18
	s_load_dwordx4 s[8:11], s[4:5], 0x0
	s_load_dwordx2 s[14:15], s[4:5], 0x50
	v_mul_u32_u24_e32 v1, 0x3c4, v0
	v_lshrrev_b32_e32 v1, 16, v1
	s_waitcnt lgkmcnt(0)
	s_load_dwordx2 s[12:13], s[2:3], 0x0
	v_mad_u64_u32 v[2:3], s[0:1], s6, 3, v[1:2]
	v_mov_b32_e32 v6, 0
	v_cmp_lt_u64_e64 s[0:1], s[10:11], 2
	v_mov_b32_e32 v3, v6
	v_mov_b32_e32 v4, 0
	;; [unrolled: 1-line block ×3, first 2 shown]
	s_and_b64 vcc, exec, s[0:1]
	v_mov_b32_e32 v5, 0
	v_mov_b32_e32 v10, v2
	s_cbranch_vccnz .LBB0_8
; %bb.1:
	s_load_dwordx2 s[0:1], s[4:5], 0x10
	s_add_u32 s6, s2, 8
	s_addc_u32 s7, s3, 0
	v_mov_b32_e32 v4, 0
	v_mov_b32_e32 v9, v3
	s_waitcnt lgkmcnt(0)
	s_add_u32 s18, s0, 8
	s_mov_b64 s[16:17], 1
	v_mov_b32_e32 v5, 0
	s_addc_u32 s19, s1, 0
	v_mov_b32_e32 v8, v2
.LBB0_2:                                ; =>This Inner Loop Header: Depth=1
	s_load_dwordx2 s[20:21], s[18:19], 0x0
                                        ; implicit-def: $vgpr10_vgpr11
	s_waitcnt lgkmcnt(0)
	v_or_b32_e32 v7, s21, v9
	v_cmp_ne_u64_e32 vcc, 0, v[6:7]
	s_and_saveexec_b64 s[0:1], vcc
	s_xor_b64 s[22:23], exec, s[0:1]
	s_cbranch_execz .LBB0_4
; %bb.3:                                ;   in Loop: Header=BB0_2 Depth=1
	v_cvt_f32_u32_e32 v1, s20
	v_cvt_f32_u32_e32 v3, s21
	s_sub_u32 s0, 0, s20
	s_subb_u32 s1, 0, s21
	v_mac_f32_e32 v1, 0x4f800000, v3
	v_rcp_f32_e32 v1, v1
	v_mul_f32_e32 v1, 0x5f7ffffc, v1
	v_mul_f32_e32 v3, 0x2f800000, v1
	v_trunc_f32_e32 v3, v3
	v_mac_f32_e32 v1, 0xcf800000, v3
	v_cvt_u32_f32_e32 v3, v3
	v_cvt_u32_f32_e32 v1, v1
	v_mul_lo_u32 v7, s0, v3
	v_mul_hi_u32 v10, s0, v1
	v_mul_lo_u32 v12, s1, v1
	v_mul_lo_u32 v11, s0, v1
	v_add_u32_e32 v7, v10, v7
	v_add_u32_e32 v7, v7, v12
	v_mul_hi_u32 v10, v1, v11
	v_mul_lo_u32 v12, v1, v7
	v_mul_hi_u32 v14, v1, v7
	v_mul_hi_u32 v13, v3, v11
	v_mul_lo_u32 v11, v3, v11
	v_mul_hi_u32 v15, v3, v7
	v_add_co_u32_e32 v10, vcc, v10, v12
	v_addc_co_u32_e32 v12, vcc, 0, v14, vcc
	v_mul_lo_u32 v7, v3, v7
	v_add_co_u32_e32 v10, vcc, v10, v11
	v_addc_co_u32_e32 v10, vcc, v12, v13, vcc
	v_addc_co_u32_e32 v11, vcc, 0, v15, vcc
	v_add_co_u32_e32 v7, vcc, v10, v7
	v_addc_co_u32_e32 v10, vcc, 0, v11, vcc
	v_add_co_u32_e32 v1, vcc, v1, v7
	v_addc_co_u32_e32 v3, vcc, v3, v10, vcc
	v_mul_lo_u32 v7, s0, v3
	v_mul_hi_u32 v10, s0, v1
	v_mul_lo_u32 v11, s1, v1
	v_mul_lo_u32 v12, s0, v1
	v_add_u32_e32 v7, v10, v7
	v_add_u32_e32 v7, v7, v11
	v_mul_lo_u32 v13, v1, v7
	v_mul_hi_u32 v14, v1, v12
	v_mul_hi_u32 v15, v1, v7
	;; [unrolled: 1-line block ×3, first 2 shown]
	v_mul_lo_u32 v12, v3, v12
	v_mul_hi_u32 v10, v3, v7
	v_add_co_u32_e32 v13, vcc, v14, v13
	v_addc_co_u32_e32 v14, vcc, 0, v15, vcc
	v_mul_lo_u32 v7, v3, v7
	v_add_co_u32_e32 v12, vcc, v13, v12
	v_addc_co_u32_e32 v11, vcc, v14, v11, vcc
	v_addc_co_u32_e32 v10, vcc, 0, v10, vcc
	v_add_co_u32_e32 v7, vcc, v11, v7
	v_addc_co_u32_e32 v10, vcc, 0, v10, vcc
	v_add_co_u32_e32 v1, vcc, v1, v7
	v_addc_co_u32_e32 v3, vcc, v3, v10, vcc
	v_mad_u64_u32 v[10:11], s[0:1], v8, v3, 0
	v_mul_hi_u32 v7, v8, v1
	v_mad_u64_u32 v[12:13], s[0:1], v9, v3, 0
	v_add_co_u32_e32 v7, vcc, v7, v10
	v_addc_co_u32_e32 v14, vcc, 0, v11, vcc
	v_mad_u64_u32 v[10:11], s[0:1], v9, v1, 0
	v_add_co_u32_e32 v1, vcc, v7, v10
	v_addc_co_u32_e32 v1, vcc, v14, v11, vcc
	v_addc_co_u32_e32 v3, vcc, 0, v13, vcc
	v_add_co_u32_e32 v1, vcc, v1, v12
	v_addc_co_u32_e32 v3, vcc, 0, v3, vcc
	v_mul_lo_u32 v7, s21, v1
	v_mul_lo_u32 v12, s20, v3
	v_mad_u64_u32 v[10:11], s[0:1], s20, v1, 0
	v_add3_u32 v7, v11, v12, v7
	v_sub_u32_e32 v11, v9, v7
	v_mov_b32_e32 v12, s21
	v_sub_co_u32_e32 v10, vcc, v8, v10
	v_subb_co_u32_e64 v11, s[0:1], v11, v12, vcc
	v_subrev_co_u32_e64 v12, s[0:1], s20, v10
	v_subbrev_co_u32_e64 v11, s[0:1], 0, v11, s[0:1]
	v_cmp_le_u32_e64 s[0:1], s21, v11
	v_cndmask_b32_e64 v13, 0, -1, s[0:1]
	v_cmp_le_u32_e64 s[0:1], s20, v12
	v_cndmask_b32_e64 v12, 0, -1, s[0:1]
	v_cmp_eq_u32_e64 s[0:1], s21, v11
	v_cndmask_b32_e64 v11, v13, v12, s[0:1]
	v_add_co_u32_e64 v12, s[0:1], 2, v1
	v_addc_co_u32_e64 v13, s[0:1], 0, v3, s[0:1]
	v_add_co_u32_e64 v14, s[0:1], 1, v1
	v_addc_co_u32_e64 v15, s[0:1], 0, v3, s[0:1]
	v_subb_co_u32_e32 v7, vcc, v9, v7, vcc
	v_cmp_ne_u32_e64 s[0:1], 0, v11
	v_cmp_le_u32_e32 vcc, s21, v7
	v_cndmask_b32_e64 v11, v15, v13, s[0:1]
	v_cndmask_b32_e64 v13, 0, -1, vcc
	v_cmp_le_u32_e32 vcc, s20, v10
	v_cndmask_b32_e64 v10, 0, -1, vcc
	v_cmp_eq_u32_e32 vcc, s21, v7
	v_cndmask_b32_e32 v7, v13, v10, vcc
	v_cmp_ne_u32_e32 vcc, 0, v7
	v_cndmask_b32_e32 v11, v3, v11, vcc
	v_cndmask_b32_e64 v3, v14, v12, s[0:1]
	v_cndmask_b32_e32 v10, v1, v3, vcc
.LBB0_4:                                ;   in Loop: Header=BB0_2 Depth=1
	s_andn2_saveexec_b64 s[0:1], s[22:23]
	s_cbranch_execz .LBB0_6
; %bb.5:                                ;   in Loop: Header=BB0_2 Depth=1
	v_cvt_f32_u32_e32 v1, s20
	s_sub_i32 s22, 0, s20
	v_mov_b32_e32 v11, v6
	v_rcp_iflag_f32_e32 v1, v1
	v_mul_f32_e32 v1, 0x4f7ffffe, v1
	v_cvt_u32_f32_e32 v1, v1
	v_mul_lo_u32 v3, s22, v1
	v_mul_hi_u32 v3, v1, v3
	v_add_u32_e32 v1, v1, v3
	v_mul_hi_u32 v1, v8, v1
	v_mul_lo_u32 v3, v1, s20
	v_add_u32_e32 v7, 1, v1
	v_sub_u32_e32 v3, v8, v3
	v_subrev_u32_e32 v10, s20, v3
	v_cmp_le_u32_e32 vcc, s20, v3
	v_cndmask_b32_e32 v3, v3, v10, vcc
	v_cndmask_b32_e32 v1, v1, v7, vcc
	v_add_u32_e32 v7, 1, v1
	v_cmp_le_u32_e32 vcc, s20, v3
	v_cndmask_b32_e32 v10, v1, v7, vcc
.LBB0_6:                                ;   in Loop: Header=BB0_2 Depth=1
	s_or_b64 exec, exec, s[0:1]
	v_mul_lo_u32 v1, v11, s20
	v_mul_lo_u32 v3, v10, s21
	v_mad_u64_u32 v[12:13], s[0:1], v10, s20, 0
	s_load_dwordx2 s[0:1], s[6:7], 0x0
	s_add_u32 s16, s16, 1
	v_add3_u32 v1, v13, v3, v1
	v_sub_co_u32_e32 v3, vcc, v8, v12
	v_subb_co_u32_e32 v1, vcc, v9, v1, vcc
	s_waitcnt lgkmcnt(0)
	v_mul_lo_u32 v1, s0, v1
	v_mul_lo_u32 v7, s1, v3
	v_mad_u64_u32 v[4:5], s[0:1], s0, v3, v[4:5]
	s_addc_u32 s17, s17, 0
	s_add_u32 s6, s6, 8
	v_add3_u32 v5, v7, v5, v1
	v_mov_b32_e32 v7, s10
	v_mov_b32_e32 v8, s11
	s_addc_u32 s7, s7, 0
	v_cmp_ge_u64_e32 vcc, s[16:17], v[7:8]
	s_add_u32 s18, s18, 8
	s_addc_u32 s19, s19, 0
	s_cbranch_vccnz .LBB0_8
; %bb.7:                                ;   in Loop: Header=BB0_2 Depth=1
	v_mov_b32_e32 v8, v10
	v_mov_b32_e32 v9, v11
	s_branch .LBB0_2
.LBB0_8:
	s_lshl_b64 s[0:1], s[10:11], 3
	s_add_u32 s0, s2, s0
	s_addc_u32 s1, s3, s1
	s_load_dwordx2 s[2:3], s[0:1], 0x0
	s_load_dwordx2 s[6:7], s[4:5], 0x20
                                        ; implicit-def: $sgpr4_sgpr5
                                        ; implicit-def: $vgpr7
                                        ; implicit-def: $vgpr8
                                        ; implicit-def: $vgpr9
                                        ; implicit-def: $vgpr53
	s_waitcnt lgkmcnt(0)
	v_mad_u64_u32 v[3:4], s[0:1], s2, v10, v[4:5]
	s_mov_b32 s0, 0x3c3c3c4
	v_mul_lo_u32 v1, s2, v11
	v_mul_lo_u32 v6, s3, v10
	v_mul_hi_u32 v5, v0, s0
	v_cmp_gt_u64_e32 vcc, s[6:7], v[10:11]
	v_cmp_le_u64_e64 s[0:1], s[6:7], v[10:11]
	v_add3_u32 v4, v6, v4, v1
	v_mul_u32_u24_e32 v1, 0x44, v5
	v_sub_u32_e32 v0, v0, v1
                                        ; implicit-def: $vgpr5
                                        ; implicit-def: $vgpr6
                                        ; implicit-def: $vgpr10
                                        ; implicit-def: $vgpr1
	s_and_saveexec_b64 s[2:3], s[0:1]
	s_xor_b64 s[0:1], exec, s[2:3]
; %bb.9:
	v_add_u32_e32 v5, 0x44, v0
	v_add_u32_e32 v6, 0x88, v0
	;; [unrolled: 1-line block ×8, first 2 shown]
	s_mov_b64 s[4:5], 0
; %bb.10:
	s_or_saveexec_b64 s[2:3], s[0:1]
	v_lshlrev_b64 v[3:4], 3, v[3:4]
	v_mov_b32_e32 v36, s5
	v_mov_b32_e32 v35, s4
                                        ; implicit-def: $vgpr42
                                        ; implicit-def: $vgpr38
                                        ; implicit-def: $vgpr32
                                        ; implicit-def: $vgpr28
                                        ; implicit-def: $vgpr24
                                        ; implicit-def: $vgpr20
                                        ; implicit-def: $vgpr16
                                        ; implicit-def: $vgpr12
                                        ; implicit-def: $vgpr18
                                        ; implicit-def: $vgpr26
                                        ; implicit-def: $vgpr34
                                        ; implicit-def: $vgpr44
                                        ; implicit-def: $vgpr40
                                        ; implicit-def: $vgpr30
                                        ; implicit-def: $vgpr22
                                        ; implicit-def: $vgpr14
	s_xor_b64 exec, exec, s[2:3]
	s_cbranch_execz .LBB0_12
; %bb.11:
	v_mad_u64_u32 v[6:7], s[0:1], s12, v0, 0
	v_add_u32_e32 v5, 0x44, v0
	v_mov_b32_e32 v10, s15
	v_mov_b32_e32 v1, v7
	v_mad_u64_u32 v[7:8], s[0:1], s13, v0, v[1:2]
	v_mad_u64_u32 v[8:9], s[0:1], s12, v5, 0
	v_add_co_u32_e64 v19, s[0:1], s14, v3
	v_mov_b32_e32 v1, v9
	v_addc_co_u32_e64 v20, s[0:1], v10, v4, s[0:1]
	v_lshlrev_b64 v[10:11], 3, v[6:7]
	v_mad_u64_u32 v[12:13], s[0:1], s13, v5, v[1:2]
	v_add_u32_e32 v6, 0x88, v0
	v_mad_u64_u32 v[13:14], s[0:1], s12, v6, 0
	v_add_co_u32_e64 v39, s[0:1], v19, v10
	v_mov_b32_e32 v1, v14
	v_addc_co_u32_e64 v40, s[0:1], v20, v11, s[0:1]
	v_mad_u64_u32 v[10:11], s[0:1], s13, v6, v[1:2]
	v_add_u32_e32 v7, 0xcc, v0
	v_mov_b32_e32 v9, v12
	v_mad_u64_u32 v[11:12], s[0:1], s12, v7, 0
	v_lshlrev_b64 v[8:9], 3, v[8:9]
	v_mov_b32_e32 v14, v10
	v_add_co_u32_e64 v43, s[0:1], v19, v8
	v_mov_b32_e32 v1, v12
	v_addc_co_u32_e64 v44, s[0:1], v20, v9, s[0:1]
	v_lshlrev_b64 v[9:10], 3, v[13:14]
	v_mad_u64_u32 v[12:13], s[0:1], s13, v7, v[1:2]
	v_add_u32_e32 v8, 0x110, v0
	v_mad_u64_u32 v[13:14], s[0:1], s12, v8, 0
	v_add_co_u32_e64 v45, s[0:1], v19, v9
	v_mov_b32_e32 v1, v14
	v_addc_co_u32_e64 v46, s[0:1], v20, v10, s[0:1]
	v_mad_u64_u32 v[14:15], s[0:1], s13, v8, v[1:2]
	v_add_u32_e32 v9, 0x154, v0
	v_mad_u64_u32 v[15:16], s[0:1], s12, v9, 0
	v_lshlrev_b64 v[10:11], 3, v[11:12]
	v_add_u32_e32 v53, 0x220, v0
	v_add_co_u32_e64 v47, s[0:1], v19, v10
	v_add_u32_e32 v10, 0x198, v0
	v_addc_co_u32_e64 v48, s[0:1], v20, v11, s[0:1]
	v_mov_b32_e32 v1, v16
	v_mad_u64_u32 v[17:18], s[0:1], s12, v10, 0
	v_lshlrev_b64 v[11:12], 3, v[13:14]
	v_mad_u64_u32 v[13:14], s[0:1], s13, v9, v[1:2]
	v_add_co_u32_e64 v49, s[0:1], v19, v11
	v_mov_b32_e32 v1, v18
	v_addc_co_u32_e64 v50, s[0:1], v20, v12, s[0:1]
	v_mov_b32_e32 v16, v13
	v_mad_u64_u32 v[13:14], s[0:1], s13, v10, v[1:2]
	v_add_u32_e32 v1, 0x1dc, v0
	v_lshlrev_b64 v[11:12], 3, v[15:16]
	v_mad_u64_u32 v[14:15], s[0:1], s12, v1, 0
	v_add_co_u32_e64 v51, s[0:1], v19, v11
	v_mov_b32_e32 v18, v13
	v_mov_b32_e32 v13, v15
	v_addc_co_u32_e64 v52, s[0:1], v20, v12, s[0:1]
	v_mad_u64_u32 v[15:16], s[0:1], s13, v1, v[13:14]
	v_lshlrev_b64 v[11:12], 3, v[17:18]
	v_mad_u64_u32 v[16:17], s[0:1], s12, v53, 0
	v_add_co_u32_e64 v54, s[0:1], v19, v11
	v_mov_b32_e32 v13, v17
	v_addc_co_u32_e64 v55, s[0:1], v20, v12, s[0:1]
	v_lshlrev_b64 v[11:12], 3, v[14:15]
	v_mad_u64_u32 v[13:14], s[0:1], s13, v53, v[13:14]
	v_add_u32_e32 v18, 0x264, v0
	v_mad_u64_u32 v[14:15], s[0:1], s12, v18, 0
	v_add_co_u32_e64 v56, s[0:1], v19, v11
	v_mov_b32_e32 v17, v13
	v_mov_b32_e32 v13, v15
	v_addc_co_u32_e64 v57, s[0:1], v20, v12, s[0:1]
	v_lshlrev_b64 v[11:12], 3, v[16:17]
	v_mad_u64_u32 v[15:16], s[0:1], s13, v18, v[13:14]
	v_add_u32_e32 v18, 0x2a8, v0
	v_mad_u64_u32 v[16:17], s[0:1], s12, v18, 0
	v_add_co_u32_e64 v58, s[0:1], v19, v11
	v_mov_b32_e32 v13, v17
	v_addc_co_u32_e64 v59, s[0:1], v20, v12, s[0:1]
	v_lshlrev_b64 v[11:12], 3, v[14:15]
	v_mad_u64_u32 v[13:14], s[0:1], s13, v18, v[13:14]
	v_add_u32_e32 v18, 0x2ec, v0
	v_mad_u64_u32 v[14:15], s[0:1], s12, v18, 0
	v_add_co_u32_e64 v60, s[0:1], v19, v11
	v_mov_b32_e32 v17, v13
	v_mov_b32_e32 v13, v15
	v_addc_co_u32_e64 v61, s[0:1], v20, v12, s[0:1]
	v_lshlrev_b64 v[11:12], 3, v[16:17]
	v_mad_u64_u32 v[15:16], s[0:1], s13, v18, v[13:14]
	v_add_u32_e32 v18, 0x330, v0
	v_mad_u64_u32 v[16:17], s[0:1], s12, v18, 0
	v_add_co_u32_e64 v62, s[0:1], v19, v11
	v_mov_b32_e32 v13, v17
	v_addc_co_u32_e64 v63, s[0:1], v20, v12, s[0:1]
	v_lshlrev_b64 v[11:12], 3, v[14:15]
	v_mad_u64_u32 v[13:14], s[0:1], s13, v18, v[13:14]
	v_add_u32_e32 v18, 0x374, v0
	v_mad_u64_u32 v[14:15], s[0:1], s12, v18, 0
	v_add_co_u32_e64 v64, s[0:1], v19, v11
	v_mov_b32_e32 v17, v13
	v_mov_b32_e32 v13, v15
	v_addc_co_u32_e64 v65, s[0:1], v20, v12, s[0:1]
	v_lshlrev_b64 v[11:12], 3, v[16:17]
	v_mad_u64_u32 v[15:16], s[0:1], s13, v18, v[13:14]
	v_add_u32_e32 v18, 0x3b8, v0
	v_mad_u64_u32 v[16:17], s[0:1], s12, v18, 0
	v_add_co_u32_e64 v66, s[0:1], v19, v11
	v_mov_b32_e32 v13, v17
	v_addc_co_u32_e64 v67, s[0:1], v20, v12, s[0:1]
	v_lshlrev_b64 v[11:12], 3, v[14:15]
	v_mad_u64_u32 v[13:14], s[0:1], s13, v18, v[13:14]
	v_add_u32_e32 v18, 0x3fc, v0
	v_mad_u64_u32 v[14:15], s[0:1], s12, v18, 0
	v_add_co_u32_e64 v68, s[0:1], v19, v11
	v_mov_b32_e32 v17, v13
	v_mov_b32_e32 v13, v15
	v_addc_co_u32_e64 v69, s[0:1], v20, v12, s[0:1]
	v_lshlrev_b64 v[11:12], 3, v[16:17]
	v_mad_u64_u32 v[15:16], s[0:1], s13, v18, v[13:14]
	v_add_u32_e32 v18, 0x440, v0
	v_mad_u64_u32 v[16:17], s[0:1], s12, v18, 0
	v_add_co_u32_e64 v70, s[0:1], v19, v11
	v_mov_b32_e32 v13, v17
	v_addc_co_u32_e64 v71, s[0:1], v20, v12, s[0:1]
	v_lshlrev_b64 v[11:12], 3, v[14:15]
	v_mad_u64_u32 v[13:14], s[0:1], s13, v18, v[13:14]
	v_add_co_u32_e64 v72, s[0:1], v19, v11
	v_mov_b32_e32 v17, v13
	v_addc_co_u32_e64 v73, s[0:1], v20, v12, s[0:1]
	v_lshlrev_b64 v[11:12], 3, v[16:17]
	v_add_co_u32_e64 v74, s[0:1], v19, v11
	v_addc_co_u32_e64 v75, s[0:1], v20, v12, s[0:1]
	global_load_dwordx2 v[35:36], v[39:40], off
	global_load_dwordx2 v[41:42], v[43:44], off
	;; [unrolled: 1-line block ×15, first 2 shown]
                                        ; kill: killed $vgpr56 killed $vgpr57
                                        ; kill: killed $vgpr68 killed $vgpr69
                                        ; kill: killed $vgpr45 killed $vgpr46
                                        ; kill: killed $vgpr58 killed $vgpr59
                                        ; kill: killed $vgpr39 killed $vgpr40
                                        ; kill: killed $vgpr47 killed $vgpr48
                                        ; kill: killed $vgpr62 killed $vgpr63
                                        ; kill: killed $vgpr49 killed $vgpr50
                                        ; kill: killed $vgpr66 killed $vgpr67
                                        ; kill: killed $vgpr51 killed $vgpr52
                                        ; kill: killed $vgpr70 killed $vgpr71
                                        ; kill: killed $vgpr60 killed $vgpr61
                                        ; kill: killed $vgpr54 killed $vgpr55
                                        ; kill: killed $vgpr64 killed $vgpr65
                                        ; kill: killed $vgpr43 killed $vgpr44
	global_load_dwordx2 v[39:40], v[72:73], off
	global_load_dwordx2 v[43:44], v[74:75], off
.LBB0_12:
	s_or_b64 exec, exec, s[2:3]
	s_mov_b32 s0, 0xaaaaaaab
	v_mul_hi_u32 v45, v2, s0
	s_waitcnt vmcnt(15)
	v_add_f32_e32 v46, v41, v35
	s_waitcnt vmcnt(14)
	v_add_f32_e32 v46, v37, v46
	s_waitcnt vmcnt(0)
	v_sub_f32_e32 v47, v42, v44
	v_lshrrev_b32_e32 v45, 1, v45
	v_add_f32_e32 v46, v31, v46
	v_lshl_add_u32 v45, v45, 1, v45
	v_mul_f32_e32 v48, 0xbeb8f4ab, v47
	v_mul_f32_e32 v50, 0xbf2c7751, v47
	;; [unrolled: 1-line block ×8, first 2 shown]
	v_sub_u32_e32 v2, v2, v45
	v_add_f32_e32 v45, v27, v46
	v_add_f32_e32 v46, v41, v43
	s_mov_b32 s7, 0x3f6eb680
	v_mov_b32_e32 v49, v48
	s_mov_b32 s6, 0x3f3d2fb0
	v_mov_b32_e32 v51, v50
	;; [unrolled: 2-line block ×8, first 2 shown]
	v_fmac_f32_e32 v49, 0x3f6eb680, v46
	v_fma_f32 v48, v46, s7, -v48
	v_fmac_f32_e32 v51, 0x3f3d2fb0, v46
	v_fma_f32 v50, v46, s6, -v50
	;; [unrolled: 2-line block ×8, first 2 shown]
	v_sub_f32_e32 v47, v38, v40
	v_add_f32_e32 v49, v49, v35
	v_add_f32_e32 v48, v48, v35
	;; [unrolled: 1-line block ×17, first 2 shown]
	v_mul_f32_e32 v64, 0xbf2c7751, v47
	v_mov_b32_e32 v65, v64
	v_fma_f32 v64, v46, s6, -v64
	v_fmac_f32_e32 v65, 0x3f3d2fb0, v46
	v_add_f32_e32 v48, v64, v48
	v_mul_f32_e32 v64, 0xbf7ee86f, v47
	v_add_f32_e32 v49, v65, v49
	v_mov_b32_e32 v65, v64
	v_fma_f32 v64, v46, s4, -v64
	v_fmac_f32_e32 v65, 0x3dbcf732, v46
	v_add_f32_e32 v50, v64, v50
	v_mul_f32_e32 v64, 0xbf4c4adb, v47
	v_add_f32_e32 v51, v65, v51
	v_mov_b32_e32 v65, v64
	v_fma_f32 v64, v46, s11, -v64
	v_fmac_f32_e32 v65, 0xbf1a4643, v46
	v_add_f32_e32 v52, v64, v52
	v_mul_f32_e32 v64, 0xbe3c28d5, v47
	v_add_f32_e32 v54, v65, v54
	v_mov_b32_e32 v65, v64
	v_fma_f32 v64, v46, s17, -v64
	v_fmac_f32_e32 v65, 0xbf7ba420, v46
	v_add_f32_e32 v55, v64, v55
	v_mul_f32_e32 v64, 0x3f06c442, v47
	v_add_f32_e32 v56, v65, v56
	v_mov_b32_e32 v65, v64
	v_fma_f32 v64, v46, s16, -v64
	v_fmac_f32_e32 v65, 0xbf59a7d5, v46
	v_add_f32_e32 v57, v64, v57
	v_mul_f32_e32 v64, 0x3f763a35, v47
	v_add_f32_e32 v58, v65, v58
	v_mov_b32_e32 v65, v64
	v_fma_f32 v64, v46, s10, -v64
	v_fmac_f32_e32 v65, 0xbe8c1d8e, v46
	v_add_f32_e32 v59, v64, v59
	v_mul_f32_e32 v64, 0x3f65296c, v47
	v_add_f32_e32 v60, v65, v60
	v_mov_b32_e32 v65, v64
	v_fma_f32 v64, v46, s5, -v64
	v_mul_f32_e32 v47, 0x3eb8f4ab, v47
	v_add_f32_e32 v61, v64, v61
	v_mov_b32_e32 v64, v47
	v_fmac_f32_e32 v65, 0x3ee437d1, v46
	v_fmac_f32_e32 v64, 0x3f6eb680, v46
	v_fma_f32 v46, v46, s7, -v47
	v_sub_f32_e32 v47, v32, v34
	v_add_f32_e32 v63, v64, v63
	v_add_f32_e32 v35, v46, v35
	v_add_f32_e32 v46, v31, v33
	v_mul_f32_e32 v64, 0xbf65296c, v47
	v_add_f32_e32 v62, v65, v62
	v_mov_b32_e32 v65, v64
	v_fma_f32 v64, v46, s5, -v64
	v_fmac_f32_e32 v65, 0x3ee437d1, v46
	v_add_f32_e32 v48, v64, v48
	v_mul_f32_e32 v64, 0xbf4c4adb, v47
	v_add_f32_e32 v49, v65, v49
	v_mov_b32_e32 v65, v64
	v_fma_f32 v64, v46, s11, -v64
	v_fmac_f32_e32 v65, 0xbf1a4643, v46
	v_add_f32_e32 v50, v64, v50
	v_mul_f32_e32 v64, 0x3e3c28d5, v47
	v_add_f32_e32 v51, v65, v51
	v_mov_b32_e32 v65, v64
	v_fma_f32 v64, v46, s17, -v64
	v_fmac_f32_e32 v65, 0xbf7ba420, v46
	v_add_f32_e32 v52, v64, v52
	v_mul_f32_e32 v64, 0x3f763a35, v47
	v_add_f32_e32 v54, v65, v54
	v_mov_b32_e32 v65, v64
	v_fma_f32 v64, v46, s10, -v64
	v_fmac_f32_e32 v65, 0xbe8c1d8e, v46
	v_add_f32_e32 v55, v64, v55
	v_mul_f32_e32 v64, 0x3f2c7751, v47
	v_add_f32_e32 v56, v65, v56
	v_mov_b32_e32 v65, v64
	v_fma_f32 v64, v46, s6, -v64
	v_fmac_f32_e32 v65, 0x3f3d2fb0, v46
	v_add_f32_e32 v57, v64, v57
	v_mul_f32_e32 v64, 0xbeb8f4ab, v47
	v_add_f32_e32 v58, v65, v58
	v_mov_b32_e32 v65, v64
	v_fma_f32 v64, v46, s7, -v64
	v_fmac_f32_e32 v65, 0x3f6eb680, v46
	v_add_f32_e32 v59, v64, v59
	v_mul_f32_e32 v64, 0xbf7ee86f, v47
	v_add_f32_e32 v60, v65, v60
	v_mov_b32_e32 v65, v64
	v_fma_f32 v64, v46, s4, -v64
	v_mul_f32_e32 v47, 0xbf06c442, v47
	v_add_f32_e32 v61, v64, v61
	v_mov_b32_e32 v64, v47
	v_fmac_f32_e32 v65, 0x3dbcf732, v46
	v_fmac_f32_e32 v64, 0xbf59a7d5, v46
	v_fma_f32 v46, v46, s16, -v47
	v_sub_f32_e32 v47, v28, v30
	v_add_f32_e32 v63, v64, v63
	v_add_f32_e32 v35, v46, v35
	v_add_f32_e32 v46, v27, v29
	v_mul_f32_e32 v64, 0xbf7ee86f, v47
	v_add_f32_e32 v62, v65, v62
	;; [unrolled: 50-line block ×6, first 2 shown]
	v_mov_b32_e32 v65, v63
	v_fma_f32 v63, v46, s17, -v63
	v_fmac_f32_e32 v65, 0xbf7ba420, v46
	v_add_f32_e32 v63, v63, v48
	v_mul_f32_e32 v48, 0x3eb8f4ab, v47
	v_add_f32_e32 v49, v65, v49
	v_mov_b32_e32 v65, v48
	v_fma_f32 v48, v46, s7, -v48
	v_fmac_f32_e32 v65, 0x3f6eb680, v46
	v_add_f32_e32 v48, v48, v50
	v_mul_f32_e32 v50, 0xbf06c442, v47
	v_add_f32_e32 v51, v65, v51
	v_mov_b32_e32 v65, v50
	v_fma_f32 v50, v46, s16, -v50
	v_add_f32_e32 v45, v23, v45
	v_fmac_f32_e32 v65, 0xbf59a7d5, v46
	v_add_f32_e32 v50, v50, v52
	v_mul_f32_e32 v52, 0x3f2c7751, v47
	v_add_f32_e32 v45, v19, v45
	v_add_f32_e32 v54, v65, v54
	v_mov_b32_e32 v65, v52
	v_fma_f32 v52, v46, s6, -v52
	v_add_f32_e32 v45, v15, v45
	v_fmac_f32_e32 v65, 0x3f3d2fb0, v46
	v_add_f32_e32 v52, v52, v55
	v_mul_f32_e32 v55, 0xbf4c4adb, v47
	v_add_f32_e32 v45, v11, v45
	;; [unrolled: 8-line block ×4, first 2 shown]
	v_add_f32_e32 v60, v65, v60
	v_mov_b32_e32 v65, v59
	v_fma_f32 v59, v46, s10, -v59
	v_mul_f32_e32 v47, 0x3f7ee86f, v47
	v_mul_u32_u24_e32 v2, 0x484, v2
	v_add_f32_e32 v45, v29, v45
	v_fmac_f32_e32 v65, 0xbe8c1d8e, v46
	v_add_f32_e32 v59, v59, v61
	v_mov_b32_e32 v61, v47
	v_add_f32_e32 v45, v33, v45
	v_add_f32_e32 v65, v65, v62
	v_fmac_f32_e32 v61, 0x3dbcf732, v46
	v_lshlrev_b32_e32 v62, 2, v2
	v_add_f32_e32 v45, v39, v45
	v_add_f32_e32 v61, v61, v64
	v_fma_f32 v46, v46, s4, -v47
	v_add_u32_e32 v64, 0, v62
	s_movk_i32 s0, 0x44
	v_add_f32_e32 v45, v43, v45
	v_add_f32_e32 v46, v46, v35
	v_mad_u32_u24 v35, v0, s0, v64
	v_lshlrev_b32_e32 v2, 2, v0
	ds_write2_b32 v35, v45, v49 offset1:1
	ds_write2_b32 v35, v51, v54 offset0:2 offset1:3
	ds_write2_b32 v35, v56, v58 offset0:4 offset1:5
	;; [unrolled: 1-line block ×7, first 2 shown]
	ds_write_b32 v35, v63 offset:64
	v_add_u32_e32 v54, v64, v2
	v_add3_u32 v2, 0, v2, v62
	v_add_u32_e32 v74, 0x800, v2
	v_add_u32_e32 v75, 0xa00, v2
	;; [unrolled: 1-line block ×4, first 2 shown]
	s_waitcnt lgkmcnt(0)
	s_barrier
	ds_read2_b32 v[45:46], v74 offset0:66 offset1:134
	v_lshl_add_u32 v55, v5, 2, v64
	v_lshl_add_u32 v56, v6, 2, v64
	ds_read2_b32 v[47:48], v75 offset0:74 offset1:142
	v_lshl_add_u32 v57, v7, 2, v64
	v_lshl_add_u32 v58, v8, 2, v64
	;; [unrolled: 3-line block ×3, first 2 shown]
	ds_read2_b32 v[51:52], v77 offset0:90 offset1:158
	v_lshl_add_u32 v61, v1, 2, v64
	ds_read_b32 v66, v54
	ds_read_b32 v67, v55
	ds_read_b32 v68, v56
	ds_read_b32 v69, v57
	ds_read_b32 v70, v58
	ds_read_b32 v71, v59
	ds_read_b32 v72, v60
	ds_read_b32 v73, v61
	v_cmp_gt_u32_e64 s[0:1], 34, v0
	v_lshlrev_b32_e32 v64, 2, v53
                                        ; implicit-def: $vgpr65
	s_and_saveexec_b64 s[2:3], s[0:1]
	s_cbranch_execz .LBB0_14
; %bb.13:
	v_add3_u32 v63, 0, v64, v62
	ds_read_b32 v63, v63
	ds_read_b32 v65, v2 offset:4488
.LBB0_14:
	s_or_b64 exec, exec, s[2:3]
	v_add_f32_e32 v78, v42, v36
	v_add_f32_e32 v78, v38, v78
	;; [unrolled: 1-line block ×14, first 2 shown]
	v_sub_f32_e32 v41, v41, v43
	v_add_f32_e32 v78, v40, v78
	v_add_f32_e32 v42, v42, v44
	v_mul_f32_e32 v43, 0xbeb8f4ab, v41
	v_mul_f32_e32 v79, 0xbf2c7751, v41
	;; [unrolled: 1-line block ×8, first 2 shown]
	v_sub_f32_e32 v37, v37, v39
	v_add_f32_e32 v78, v44, v78
	v_fma_f32 v44, v42, s7, -v43
	v_fmac_f32_e32 v43, 0x3f6eb680, v42
	v_fma_f32 v80, v42, s6, -v79
	v_fmac_f32_e32 v79, 0x3f3d2fb0, v42
	;; [unrolled: 2-line block ×8, first 2 shown]
	v_add_f32_e32 v38, v38, v40
	v_mul_f32_e32 v39, 0xbf2c7751, v37
	v_add_f32_e32 v44, v44, v36
	v_add_f32_e32 v43, v43, v36
	;; [unrolled: 1-line block ×16, first 2 shown]
	v_fma_f32 v40, v38, s6, -v39
	v_fmac_f32_e32 v39, 0x3f3d2fb0, v38
	v_mul_f32_e32 v41, 0xbf7ee86f, v37
	v_add_f32_e32 v39, v39, v43
	v_fma_f32 v42, v38, s4, -v41
	v_fmac_f32_e32 v41, 0x3dbcf732, v38
	v_mul_f32_e32 v43, 0xbf4c4adb, v37
	v_add_f32_e32 v40, v40, v44
	v_add_f32_e32 v41, v41, v79
	v_fma_f32 v44, v38, s11, -v43
	v_fmac_f32_e32 v43, 0xbf1a4643, v38
	v_mul_f32_e32 v79, 0xbe3c28d5, v37
	v_add_f32_e32 v42, v42, v80
	;; [unrolled: 5-line block ×4, first 2 shown]
	v_add_f32_e32 v81, v81, v85
	v_fma_f32 v84, v38, s10, -v83
	v_fmac_f32_e32 v83, 0xbe8c1d8e, v38
	v_mul_f32_e32 v85, 0x3f65296c, v37
	v_mul_f32_e32 v37, 0x3eb8f4ab, v37
	v_sub_f32_e32 v31, v31, v33
	v_add_f32_e32 v83, v83, v87
	v_fma_f32 v87, v38, s7, -v37
	v_fmac_f32_e32 v37, 0x3f6eb680, v38
	v_add_f32_e32 v32, v32, v34
	v_mul_f32_e32 v33, 0xbf65296c, v31
	v_add_f32_e32 v36, v37, v36
	v_fma_f32 v34, v32, s5, -v33
	v_fmac_f32_e32 v33, 0x3ee437d1, v32
	v_mul_f32_e32 v37, 0xbf4c4adb, v31
	v_add_f32_e32 v82, v82, v86
	v_fma_f32 v86, v38, s5, -v85
	v_fmac_f32_e32 v85, 0x3ee437d1, v38
	v_add_f32_e32 v33, v33, v39
	v_fma_f32 v38, v32, s11, -v37
	v_fmac_f32_e32 v37, 0xbf1a4643, v32
	v_mul_f32_e32 v39, 0x3e3c28d5, v31
	v_add_f32_e32 v34, v34, v40
	v_add_f32_e32 v37, v37, v41
	v_fma_f32 v40, v32, s17, -v39
	v_fmac_f32_e32 v39, 0xbf7ba420, v32
	v_mul_f32_e32 v41, 0x3f763a35, v31
	v_add_f32_e32 v38, v38, v42
	v_add_f32_e32 v39, v39, v43
	v_fma_f32 v42, v32, s10, -v41
	v_fmac_f32_e32 v41, 0xbe8c1d8e, v32
	v_mul_f32_e32 v43, 0x3f2c7751, v31
	v_add_f32_e32 v40, v40, v44
	v_add_f32_e32 v41, v41, v79
	v_fma_f32 v44, v32, s6, -v43
	v_fmac_f32_e32 v43, 0x3f3d2fb0, v32
	v_mul_f32_e32 v79, 0xbeb8f4ab, v31
	v_sub_f32_e32 v27, v27, v29
	v_add_f32_e32 v42, v42, v80
	v_add_f32_e32 v43, v43, v81
	v_fma_f32 v80, v32, s7, -v79
	v_fmac_f32_e32 v79, 0x3f6eb680, v32
	v_mul_f32_e32 v81, 0xbf7ee86f, v31
	v_mul_f32_e32 v31, 0xbf06c442, v31
	v_add_f32_e32 v28, v28, v30
	v_mul_f32_e32 v29, 0xbf7ee86f, v27
	v_add_f32_e32 v44, v44, v82
	v_add_f32_e32 v79, v79, v83
	v_fma_f32 v82, v32, s4, -v81
	v_fmac_f32_e32 v81, 0x3dbcf732, v32
	v_fma_f32 v83, v32, s16, -v31
	v_fmac_f32_e32 v31, 0xbf59a7d5, v32
	v_fma_f32 v30, v28, s4, -v29
	v_fmac_f32_e32 v29, 0x3dbcf732, v28
	v_mul_f32_e32 v32, 0xbe3c28d5, v27
	v_add_f32_e32 v30, v30, v34
	v_add_f32_e32 v29, v29, v33
	v_fma_f32 v33, v28, s17, -v32
	v_fmac_f32_e32 v32, 0xbf7ba420, v28
	v_mul_f32_e32 v34, 0x3f763a35, v27
	v_add_f32_e32 v31, v31, v36
	v_add_f32_e32 v32, v32, v37
	v_fma_f32 v36, v28, s10, -v34
	v_fmac_f32_e32 v34, 0xbe8c1d8e, v28
	v_mul_f32_e32 v37, 0x3eb8f4ab, v27
	v_add_f32_e32 v33, v33, v38
	v_add_f32_e32 v34, v34, v39
	v_fma_f32 v38, v28, s7, -v37
	v_fmac_f32_e32 v37, 0x3f6eb680, v28
	v_mul_f32_e32 v39, 0xbf65296c, v27
	v_add_f32_e32 v36, v36, v40
	v_add_f32_e32 v37, v37, v41
	v_fma_f32 v40, v28, s5, -v39
	v_fmac_f32_e32 v39, 0x3ee437d1, v28
	v_mul_f32_e32 v41, 0xbf06c442, v27
	v_sub_f32_e32 v23, v23, v25
	v_add_f32_e32 v38, v38, v42
	v_add_f32_e32 v39, v39, v43
	v_fma_f32 v42, v28, s16, -v41
	v_fmac_f32_e32 v41, 0xbf59a7d5, v28
	v_mul_f32_e32 v43, 0x3f4c4adb, v27
	v_mul_f32_e32 v27, 0x3f2c7751, v27
	v_add_f32_e32 v24, v24, v26
	v_mul_f32_e32 v25, 0xbf763a35, v23
	v_add_f32_e32 v40, v40, v44
	v_add_f32_e32 v41, v41, v79
	v_fma_f32 v44, v28, s11, -v43
	v_fmac_f32_e32 v43, 0xbf1a4643, v28
	v_fma_f32 v79, v28, s6, -v27
	v_fmac_f32_e32 v27, 0x3f3d2fb0, v28
	v_fma_f32 v26, v24, s10, -v25
	v_fmac_f32_e32 v25, 0xbe8c1d8e, v24
	v_mul_f32_e32 v28, 0x3f06c442, v23
	v_add_f32_e32 v26, v26, v30
	;; [unrolled: 38-line block ×4, first 2 shown]
	v_add_f32_e32 v17, v17, v21
	v_fma_f32 v21, v16, s5, -v20
	v_fmac_f32_e32 v20, 0x3ee437d1, v16
	v_mul_f32_e32 v22, 0xbf7ee86f, v15
	v_add_f32_e32 v84, v84, v88
	v_add_f32_e32 v19, v19, v23
	;; [unrolled: 1-line block ×3, first 2 shown]
	v_fma_f32 v23, v16, s4, -v22
	v_fmac_f32_e32 v22, 0x3dbcf732, v16
	v_mul_f32_e32 v24, 0x3f4c4adb, v15
	v_add_f32_e32 v80, v80, v84
	v_add_f32_e32 v21, v21, v25
	;; [unrolled: 1-line block ×3, first 2 shown]
	v_fma_f32 v25, v16, s11, -v24
	v_fmac_f32_e32 v24, 0xbf1a4643, v16
	v_mul_f32_e32 v26, 0xbeb8f4ab, v15
	v_sub_f32_e32 v11, v11, v13
	v_add_f32_e32 v42, v42, v80
	v_add_f32_e32 v23, v23, v27
	;; [unrolled: 1-line block ×3, first 2 shown]
	v_fma_f32 v27, v16, s7, -v26
	v_fmac_f32_e32 v26, 0x3f6eb680, v16
	v_mul_f32_e32 v28, 0xbe3c28d5, v15
	v_add_f32_e32 v12, v12, v14
	v_mul_f32_e32 v13, 0xbe3c28d5, v11
	v_add_f32_e32 v38, v38, v42
	v_add_f32_e32 v25, v25, v29
	;; [unrolled: 1-line block ×3, first 2 shown]
	v_fma_f32 v29, v16, s17, -v28
	v_fmac_f32_e32 v28, 0xbf7ba420, v16
	v_mul_f32_e32 v30, 0x3f2c7751, v15
	v_mul_f32_e32 v15, 0xbf763a35, v15
	v_fma_f32 v14, v12, s17, -v13
	v_fmac_f32_e32 v13, 0xbf7ba420, v12
	v_add_f32_e32 v86, v86, v90
	v_add_f32_e32 v85, v85, v89
	;; [unrolled: 1-line block ×5, first 2 shown]
	v_fma_f32 v32, v16, s10, -v15
	v_fmac_f32_e32 v15, 0xbe8c1d8e, v16
	v_add_f32_e32 v38, v13, v17
	v_mul_f32_e32 v13, 0x3eb8f4ab, v11
	v_add_f32_e32 v82, v82, v86
	v_add_f32_e32 v81, v81, v85
	;; [unrolled: 1-line block ×4, first 2 shown]
	v_fma_f32 v31, v16, s6, -v30
	v_fmac_f32_e32 v30, 0x3f3d2fb0, v16
	v_add_f32_e32 v15, v15, v19
	v_fma_f32 v16, v12, s7, -v13
	v_fmac_f32_e32 v13, 0x3f6eb680, v12
	v_mul_f32_e32 v17, 0xbf06c442, v11
	v_mul_f32_e32 v19, 0x3f2c7751, v11
	v_add_f32_e32 v44, v44, v82
	v_add_f32_e32 v43, v43, v81
	;; [unrolled: 1-line block ×6, first 2 shown]
	v_fma_f32 v18, v12, s16, -v17
	v_fmac_f32_e32 v17, 0xbf59a7d5, v12
	v_fma_f32 v20, v12, s6, -v19
	v_mul_f32_e32 v21, 0xbf4c4adb, v11
	v_add_f32_e32 v40, v40, v44
	v_add_f32_e32 v39, v39, v43
	;; [unrolled: 1-line block ×6, first 2 shown]
	v_fma_f32 v22, v12, s11, -v21
	v_mul_f32_e32 v23, 0x3f65296c, v11
	v_mul_f32_e32 v25, 0xbf763a35, v11
	v_mul_f32_e32 v11, 0x3f7ee86f, v11
	v_add_f32_e32 v36, v36, v40
	v_add_f32_e32 v34, v34, v39
	;; [unrolled: 1-line block ×3, first 2 shown]
	v_fmac_f32_e32 v19, 0x3f3d2fb0, v12
	v_add_f32_e32 v22, v22, v27
	v_fmac_f32_e32 v21, 0xbf1a4643, v12
	v_fma_f32 v27, v12, s4, -v11
	v_fmac_f32_e32 v11, 0x3dbcf732, v12
	v_add_f32_e32 v29, v29, v33
	v_add_f32_e32 v31, v31, v36
	;; [unrolled: 1-line block ×6, first 2 shown]
	v_fma_f32 v24, v12, s5, -v23
	v_fmac_f32_e32 v23, 0x3ee437d1, v12
	v_fma_f32 v26, v12, s10, -v25
	v_fmac_f32_e32 v25, 0xbe8c1d8e, v12
	v_add_f32_e32 v11, v11, v15
	v_add_f32_e32 v24, v24, v29
	;; [unrolled: 1-line block ×6, first 2 shown]
	s_waitcnt lgkmcnt(0)
	s_barrier
	ds_write2_b32 v35, v78, v14 offset1:1
	ds_write2_b32 v35, v16, v18 offset0:2 offset1:3
	ds_write2_b32 v35, v20, v22 offset0:4 offset1:5
	;; [unrolled: 1-line block ×7, first 2 shown]
	ds_write_b32 v35, v38 offset:64
	s_waitcnt lgkmcnt(0)
	s_barrier
	ds_read2_b32 v[17:18], v74 offset0:66 offset1:134
	ds_read2_b32 v[15:16], v75 offset0:74 offset1:142
	;; [unrolled: 1-line block ×4, first 2 shown]
	ds_read_b32 v75, v54
	ds_read_b32 v74, v55
	;; [unrolled: 1-line block ×8, first 2 shown]
                                        ; implicit-def: $vgpr76
	s_and_saveexec_b64 s[2:3], s[0:1]
	s_cbranch_execz .LBB0_16
; %bb.15:
	v_add3_u32 v19, 0, v64, v62
	ds_read_b32 v38, v19
	ds_read_b32 v76, v2 offset:4488
.LBB0_16:
	s_or_b64 exec, exec, s[2:3]
	s_movk_i32 s2, 0xf1
	v_mul_lo_u16_sdwa v20, v5, s2 dst_sel:DWORD dst_unused:UNUSED_PAD src0_sel:BYTE_0 src1_sel:DWORD
	v_lshrrev_b16_e32 v79, 12, v20
	v_mul_lo_u16_e32 v20, 17, v79
	v_mul_lo_u16_sdwa v19, v0, s2 dst_sel:DWORD dst_unused:UNUSED_PAD src0_sel:BYTE_0 src1_sel:DWORD
	v_sub_u16_e32 v80, v5, v20
	v_mul_lo_u16_sdwa v20, v6, s2 dst_sel:DWORD dst_unused:UNUSED_PAD src0_sel:BYTE_0 src1_sel:DWORD
	v_lshrrev_b16_e32 v77, 12, v19
	v_lshrrev_b16_e32 v81, 12, v20
	v_mul_lo_u16_e32 v19, 17, v77
	v_mul_lo_u16_e32 v20, 17, v81
	v_sub_u16_e32 v78, v0, v19
	v_mov_b32_e32 v19, 3
	v_sub_u16_e32 v82, v6, v20
	s_mov_b32 s2, 0xf0f1
	v_lshlrev_b32_sdwa v27, v19, v78 dst_sel:DWORD dst_unused:UNUSED_PAD src0_sel:DWORD src1_sel:BYTE_0
	v_lshlrev_b32_sdwa v28, v19, v80 dst_sel:DWORD dst_unused:UNUSED_PAD src0_sel:DWORD src1_sel:BYTE_0
	;; [unrolled: 1-line block ×3, first 2 shown]
	v_mul_u32_u24_sdwa v19, v7, s2 dst_sel:DWORD dst_unused:UNUSED_PAD src0_sel:WORD_0 src1_sel:DWORD
	v_lshrrev_b32_e32 v83, 20, v19
	v_mul_lo_u16_e32 v19, 17, v83
	v_sub_u16_e32 v84, v7, v19
	v_lshlrev_b32_e32 v30, 3, v84
	global_load_dwordx2 v[25:26], v27, s[8:9]
	global_load_dwordx2 v[23:24], v28, s[8:9]
	;; [unrolled: 1-line block ×4, first 2 shown]
	v_mul_u32_u24_sdwa v27, v8, s2 dst_sel:DWORD dst_unused:UNUSED_PAD src0_sel:WORD_0 src1_sel:DWORD
	v_lshrrev_b32_e32 v85, 20, v27
	v_mul_lo_u16_e32 v27, 17, v85
	v_sub_u16_e32 v86, v8, v27
	v_mul_u32_u24_sdwa v27, v9, s2 dst_sel:DWORD dst_unused:UNUSED_PAD src0_sel:WORD_0 src1_sel:DWORD
	v_lshrrev_b32_e32 v87, 20, v27
	v_mul_lo_u16_e32 v27, 17, v87
	v_sub_u16_e32 v88, v9, v27
	;; [unrolled: 4-line block ×3, first 2 shown]
	v_mul_u32_u24_sdwa v27, v1, s2 dst_sel:DWORD dst_unused:UNUSED_PAD src0_sel:WORD_0 src1_sel:DWORD
	v_lshrrev_b32_e32 v91, 20, v27
	v_mul_lo_u16_e32 v27, 17, v91
	v_lshlrev_b32_e32 v35, 3, v86
	v_sub_u16_e32 v92, v1, v27
	v_lshlrev_b32_e32 v36, 3, v88
	v_lshlrev_b32_e32 v37, 3, v90
	;; [unrolled: 1-line block ×3, first 2 shown]
	global_load_dwordx2 v[33:34], v35, s[8:9]
	global_load_dwordx2 v[31:32], v36, s[8:9]
	;; [unrolled: 1-line block ×4, first 2 shown]
	v_mul_u32_u24_sdwa v35, v53, s2 dst_sel:DWORD dst_unused:UNUSED_PAD src0_sel:WORD_0 src1_sel:DWORD
	v_lshrrev_b32_e32 v93, 20, v35
	v_mul_lo_u16_e32 v35, 17, v93
	v_sub_u16_e32 v94, v53, v35
	v_lshlrev_b32_e32 v35, 3, v94
	global_load_dwordx2 v[35:36], v35, s[8:9]
	s_movk_i32 s2, 0x88
	s_waitcnt vmcnt(0) lgkmcnt(0)
	s_barrier
	v_mul_f32_e32 v37, v17, v26
	v_mul_f32_e32 v95, v18, v24
	;; [unrolled: 1-line block ×3, first 2 shown]
	v_fmac_f32_e32 v96, v47, v21
	v_mul_f32_e32 v97, v16, v20
	v_fmac_f32_e32 v37, v45, v25
	v_fmac_f32_e32 v95, v46, v23
	v_sub_f32_e32 v96, v68, v96
	v_fmac_f32_e32 v97, v48, v19
	v_sub_f32_e32 v103, v66, v37
	v_sub_f32_e32 v95, v67, v95
	v_fma_f32 v106, v68, 2.0, -v96
	v_mov_b32_e32 v68, 2
	v_sub_f32_e32 v97, v69, v97
	v_fma_f32 v104, v66, 2.0, -v103
	v_fma_f32 v105, v67, 2.0, -v95
	v_mad_u32_u24 v66, v77, s2, 0
	v_lshlrev_b32_sdwa v67, v68, v78 dst_sel:DWORD dst_unused:UNUSED_PAD src0_sel:DWORD src1_sel:BYTE_0
	v_fma_f32 v107, v69, 2.0, -v97
	v_add3_u32 v66, v66, v67, v62
	v_mad_u32_u24 v67, v79, s2, 0
	v_mul_f32_e32 v98, v13, v34
	v_mul_f32_e32 v99, v14, v32
	v_fmac_f32_e32 v98, v49, v33
	v_lshlrev_b32_sdwa v69, v68, v80 dst_sel:DWORD dst_unused:UNUSED_PAD src0_sel:DWORD src1_sel:BYTE_0
	v_fmac_f32_e32 v99, v50, v31
	v_sub_f32_e32 v98, v70, v98
	v_add3_u32 v67, v67, v69, v62
	v_mad_u32_u24 v69, v81, s2, 0
	v_lshlrev_b32_sdwa v68, v68, v82 dst_sel:DWORD dst_unused:UNUSED_PAD src0_sel:DWORD src1_sel:BYTE_0
	v_sub_f32_e32 v99, v71, v99
	v_fma_f32 v108, v70, 2.0, -v98
	v_add3_u32 v68, v69, v68, v62
	v_mad_u32_u24 v69, v83, s2, 0
	v_lshlrev_b32_e32 v70, 2, v84
	v_mul_f32_e32 v100, v11, v30
	v_fma_f32 v109, v71, 2.0, -v99
	v_add3_u32 v69, v69, v70, v62
	v_mad_u32_u24 v70, v85, s2, 0
	v_lshlrev_b32_e32 v71, 2, v86
	v_fmac_f32_e32 v100, v51, v29
	v_add3_u32 v70, v70, v71, v62
	v_mad_u32_u24 v71, v87, s2, 0
	v_lshlrev_b32_e32 v77, 2, v88
	v_mul_f32_e32 v101, v12, v28
	v_sub_f32_e32 v100, v72, v100
	v_add3_u32 v71, v71, v77, v62
	v_mad_u32_u24 v77, v89, s2, 0
	v_lshlrev_b32_e32 v78, 2, v90
	v_fmac_f32_e32 v101, v52, v27
	v_fma_f32 v72, v72, 2.0, -v100
	v_add3_u32 v77, v77, v78, v62
	v_mul_f32_e32 v102, v76, v36
	v_sub_f32_e32 v101, v73, v101
	ds_write2_b32 v66, v104, v103 offset1:17
	ds_write2_b32 v67, v105, v95 offset1:17
	;; [unrolled: 1-line block ×7, first 2 shown]
	v_mad_u32_u24 v72, v91, s2, 0
	v_lshlrev_b32_e32 v78, 2, v92
	v_fmac_f32_e32 v102, v65, v35
	v_fma_f32 v73, v73, 2.0, -v101
	v_add3_u32 v78, v72, v78, v62
	v_sub_f32_e32 v37, v63, v102
	ds_write2_b32 v78, v73, v101 offset1:17
	v_mul_lo_u16_e32 v72, 34, v93
	v_lshl_add_u32 v73, v94, 2, 0
	s_and_saveexec_b64 s[2:3], s[0:1]
	s_cbranch_execz .LBB0_18
; %bb.17:
	v_lshlrev_b32_e32 v79, 2, v72
	v_fma_f32 v63, v63, 2.0, -v37
	v_add3_u32 v79, v73, v79, v62
	ds_write2_b32 v79, v63, v37 offset1:17
.LBB0_18:
	s_or_b64 exec, exec, s[2:3]
	v_mul_f32_e32 v20, v48, v20
	v_fma_f32 v16, v16, v19, -v20
	v_mul_f32_e32 v19, v49, v34
	v_fma_f32 v13, v13, v33, -v19
	;; [unrolled: 2-line block ×3, first 2 shown]
	v_mul_f32_e32 v19, v51, v30
	v_mul_f32_e32 v24, v46, v24
	;; [unrolled: 1-line block ×3, first 2 shown]
	v_fma_f32 v11, v11, v29, -v19
	v_mul_f32_e32 v19, v52, v28
	v_sub_f32_e32 v47, v41, v14
	v_mul_f32_e32 v26, v45, v26
	v_fma_f32 v18, v18, v23, -v24
	v_fma_f32 v12, v12, v27, -v19
	v_fma_f32 v48, v41, 2.0, -v47
	s_waitcnt lgkmcnt(0)
	s_barrier
	ds_read_b32 v30, v54
	ds_read_b32 v45, v55
	;; [unrolled: 1-line block ×8, first 2 shown]
	v_fma_f32 v15, v15, v21, -v22
	v_sub_f32_e32 v31, v44, v15
	v_mul_f32_e32 v19, v65, v36
	v_fma_f32 v32, v44, 2.0, -v31
	v_sub_f32_e32 v44, v42, v13
	v_sub_f32_e32 v49, v40, v11
	;; [unrolled: 1-line block ×3, first 2 shown]
	v_fma_f32 v17, v17, v25, -v26
	v_fma_f32 v19, v76, v35, -v19
	v_fma_f32 v46, v42, 2.0, -v44
	v_fma_f32 v50, v40, 2.0, -v49
	;; [unrolled: 1-line block ×3, first 2 shown]
	v_add3_u32 v11, 0, v64, v62
	v_add_u32_e32 v42, 0x800, v2
	v_add_u32_e32 v40, 0xa00, v2
	v_add_u32_e32 v39, 0xc00, v2
	v_add_u32_e32 v36, 0xe00, v2
	v_sub_f32_e32 v21, v75, v17
	v_sub_f32_e32 v25, v74, v18
	;; [unrolled: 1-line block ×4, first 2 shown]
	ds_read_b32 v24, v11
	ds_read2_b32 v[19:20], v42 offset0:100 offset1:168
	ds_read2_b32 v[17:18], v40 offset0:108 offset1:176
	ds_read2_b32 v[15:16], v39 offset0:116 offset1:184
	ds_read2_b32 v[13:14], v36 offset0:124 offset1:192
	v_fma_f32 v22, v75, 2.0, -v21
	v_fma_f32 v26, v74, 2.0, -v25
	v_fma_f32 v43, v43, 2.0, -v35
	s_waitcnt lgkmcnt(0)
	s_barrier
	ds_write2_b32 v66, v22, v21 offset1:17
	ds_write2_b32 v67, v26, v25 offset1:17
	;; [unrolled: 1-line block ×8, first 2 shown]
	s_and_saveexec_b64 s[2:3], s[0:1]
	s_cbranch_execz .LBB0_20
; %bb.19:
	v_lshlrev_b32_e32 v21, 2, v72
	v_fma_f32 v12, v38, 2.0, -v29
	v_add3_u32 v21, v73, v21, v62
	ds_write2_b32 v21, v12, v29 offset1:17
.LBB0_20:
	s_or_b64 exec, exec, s[2:3]
	v_subrev_u32_e32 v12, 34, v0
	v_cndmask_b32_e64 v44, v12, v0, s[0:1]
	v_lshlrev_b32_e32 v21, 4, v44
	v_mov_b32_e32 v22, 0
	v_lshlrev_b64 v[21:22], 3, v[21:22]
	v_mov_b32_e32 v25, s9
	v_add_co_u32_e64 v21, s[2:3], s8, v21
	v_addc_co_u32_e64 v22, s[2:3], v25, v22, s[2:3]
	s_waitcnt lgkmcnt(0)
	s_barrier
	global_load_dwordx4 v[46:49], v[21:22], off offset:136
	global_load_dwordx4 v[71:74], v[21:22], off offset:152
	;; [unrolled: 1-line block ×8, first 2 shown]
	ds_read_b32 v64, v54
	ds_read_b32 v50, v55
	;; [unrolled: 1-line block ×9, first 2 shown]
	ds_read2_b32 v[99:100], v42 offset0:100 offset1:168
	ds_read2_b32 v[101:102], v40 offset0:108 offset1:176
	;; [unrolled: 1-line block ×4, first 2 shown]
	s_mov_b32 s6, 0x3f6eb680
	s_mov_b32 s4, 0x3f3d2fb0
	;; [unrolled: 1-line block ×8, first 2 shown]
	v_lshlrev_b32_e32 v44, 2, v44
	s_waitcnt vmcnt(0) lgkmcnt(0)
	s_barrier
	v_mul_f32_e32 v66, v52, v49
	v_mul_f32_e32 v68, v41, v49
	;; [unrolled: 1-line block ×4, first 2 shown]
	v_fmac_f32_e32 v66, v41, v48
	v_fma_f32 v41, v70, v75, -v76
	v_mul_f32_e32 v51, v65, v72
	v_mul_f32_e32 v70, v105, v96
	;; [unrolled: 1-line block ×3, first 2 shown]
	v_fmac_f32_e32 v70, v13, v95
	v_mul_f32_e32 v13, v13, v96
	v_mul_f32_e32 v69, v50, v47
	;; [unrolled: 1-line block ×4, first 2 shown]
	v_fmac_f32_e32 v51, v34, v71
	v_fma_f32 v65, v65, v71, -v110
	v_fma_f32 v71, v105, v95, -v13
	v_mul_f32_e32 v13, v14, v98
	v_mul_f32_e32 v43, v67, v74
	;; [unrolled: 1-line block ×4, first 2 shown]
	v_fma_f32 v72, v50, v46, -v47
	v_fmac_f32_e32 v35, v28, v75
	v_fmac_f32_e32 v49, v15, v91
	v_mul_f32_e32 v15, v16, v94
	v_fma_f32 v75, v106, v97, -v13
	v_mul_f32_e32 v31, v107, v78
	v_mul_f32_e32 v78, v27, v78
	;; [unrolled: 1-line block ×7, first 2 shown]
	v_fma_f32 v50, v67, v73, -v74
	v_fma_f32 v67, v104, v93, -v15
	v_mul_f32_e32 v74, v106, v98
	v_sub_f32_e32 v15, v72, v75
	v_mul_f32_e32 v21, v109, v82
	v_mul_f32_e32 v82, v24, v82
	;; [unrolled: 1-line block ×6, first 2 shown]
	v_fmac_f32_e32 v69, v45, v46
	v_fmac_f32_e32 v43, v33, v73
	;; [unrolled: 1-line block ×3, first 2 shown]
	v_fma_f32 v33, v107, v77, -v78
	v_fmac_f32_e32 v25, v23, v79
	v_fma_f32 v27, v108, v79, -v80
	v_fmac_f32_e32 v26, v20, v85
	v_fmac_f32_e32 v38, v18, v89
	;; [unrolled: 1-line block ×4, first 2 shown]
	v_mul_f32_e32 v16, 0xbeb8f4ab, v15
	v_mul_f32_e32 v18, 0xbf2c7751, v15
	;; [unrolled: 1-line block ×10, first 2 shown]
	v_fma_f32 v68, v52, v48, -v68
	v_fmac_f32_e32 v21, v24, v81
	v_fma_f32 v23, v109, v81, -v82
	v_fmac_f32_e32 v22, v19, v83
	v_fmac_f32_e32 v32, v17, v87
	v_add_f32_e32 v14, v69, v74
	v_mov_b32_e32 v17, v16
	v_mov_b32_e32 v19, v18
	;; [unrolled: 1-line block ×8, first 2 shown]
	v_fmac_f32_e32 v17, 0x3f6eb680, v14
	v_fma_f32 v16, v14, s6, -v16
	v_fmac_f32_e32 v19, 0x3f3d2fb0, v14
	v_fma_f32 v18, v14, s4, -v18
	;; [unrolled: 2-line block ×8, first 2 shown]
	v_add_f32_e32 v13, v30, v69
	v_add_f32_e32 v17, v30, v17
	;; [unrolled: 1-line block ×17, first 2 shown]
	v_sub_f32_e32 v30, v68, v71
	v_add_f32_e32 v15, v66, v70
	v_mul_f32_e32 v82, 0xbf2c7751, v30
	v_fma_f32 v24, v99, v83, -v84
	v_mov_b32_e32 v83, v82
	v_fma_f32 v82, v15, s4, -v82
	v_fmac_f32_e32 v83, 0x3f3d2fb0, v15
	v_add_f32_e32 v16, v82, v16
	v_mul_f32_e32 v82, 0xbf7ee86f, v30
	v_add_f32_e32 v17, v83, v17
	v_mov_b32_e32 v83, v82
	v_fma_f32 v82, v15, s2, -v82
	v_fmac_f32_e32 v83, 0x3dbcf732, v15
	v_add_f32_e32 v18, v82, v18
	v_mul_f32_e32 v82, 0xbf4c4adb, v30
	v_add_f32_e32 v19, v83, v19
	;; [unrolled: 6-line block ×6, first 2 shown]
	v_mov_b32_e32 v83, v82
	v_fma_f32 v82, v15, s3, -v82
	v_mul_f32_e32 v30, 0x3eb8f4ab, v30
	v_add_f32_e32 v79, v82, v79
	v_mov_b32_e32 v82, v30
	v_fmac_f32_e32 v83, 0x3ee437d1, v15
	v_fmac_f32_e32 v82, 0x3f6eb680, v15
	v_fma_f32 v15, v15, s6, -v30
	v_sub_f32_e32 v30, v65, v67
	v_add_f32_e32 v81, v82, v81
	v_add_f32_e32 v14, v15, v14
	v_add_f32_e32 v15, v51, v63
	v_mul_f32_e32 v82, 0xbf65296c, v30
	v_add_f32_e32 v80, v83, v80
	v_mov_b32_e32 v83, v82
	v_fma_f32 v82, v15, s3, -v82
	v_fmac_f32_e32 v83, 0x3ee437d1, v15
	v_add_f32_e32 v16, v82, v16
	v_mul_f32_e32 v82, 0xbf4c4adb, v30
	v_add_f32_e32 v17, v83, v17
	v_mov_b32_e32 v83, v82
	v_fma_f32 v82, v15, s7, -v82
	v_fmac_f32_e32 v83, 0xbf1a4643, v15
	v_add_f32_e32 v18, v82, v18
	v_mul_f32_e32 v82, 0x3e3c28d5, v30
	v_add_f32_e32 v19, v83, v19
	v_mov_b32_e32 v83, v82
	v_fma_f32 v82, v15, s11, -v82
	v_fmac_f32_e32 v83, 0xbf7ba420, v15
	v_add_f32_e32 v20, v82, v20
	v_mul_f32_e32 v82, 0x3f763a35, v30
	v_add_f32_e32 v46, v83, v46
	v_mov_b32_e32 v83, v82
	v_fma_f32 v82, v15, s5, -v82
	v_fmac_f32_e32 v83, 0xbe8c1d8e, v15
	v_add_f32_e32 v47, v82, v47
	v_mul_f32_e32 v82, 0x3f2c7751, v30
	v_add_f32_e32 v48, v83, v48
	v_mov_b32_e32 v83, v82
	v_fma_f32 v82, v15, s4, -v82
	v_fmac_f32_e32 v83, 0x3f3d2fb0, v15
	v_add_f32_e32 v73, v82, v73
	v_mul_f32_e32 v82, 0xbeb8f4ab, v30
	v_add_f32_e32 v76, v83, v76
	v_mov_b32_e32 v83, v82
	v_fma_f32 v82, v15, s6, -v82
	v_fmac_f32_e32 v83, 0x3f6eb680, v15
	v_add_f32_e32 v77, v82, v77
	v_mul_f32_e32 v82, 0xbf7ee86f, v30
	v_add_f32_e32 v78, v83, v78
	v_mov_b32_e32 v83, v82
	v_fma_f32 v82, v15, s2, -v82
	v_mul_f32_e32 v30, 0xbf06c442, v30
	v_fma_f32 v52, v103, v91, -v92
	v_add_f32_e32 v79, v82, v79
	v_mov_b32_e32 v82, v30
	v_fmac_f32_e32 v83, 0x3dbcf732, v15
	v_fmac_f32_e32 v82, 0xbf59a7d5, v15
	v_fma_f32 v15, v15, s10, -v30
	v_sub_f32_e32 v30, v50, v52
	v_add_f32_e32 v81, v82, v81
	v_add_f32_e32 v14, v15, v14
	v_add_f32_e32 v15, v43, v49
	v_mul_f32_e32 v82, 0xbf7ee86f, v30
	v_add_f32_e32 v80, v83, v80
	v_mov_b32_e32 v83, v82
	v_fma_f32 v82, v15, s2, -v82
	v_fmac_f32_e32 v83, 0x3dbcf732, v15
	v_add_f32_e32 v16, v82, v16
	v_mul_f32_e32 v82, 0xbe3c28d5, v30
	v_add_f32_e32 v17, v83, v17
	v_mov_b32_e32 v83, v82
	v_fma_f32 v82, v15, s11, -v82
	v_fmac_f32_e32 v83, 0xbf7ba420, v15
	v_add_f32_e32 v18, v82, v18
	v_mul_f32_e32 v82, 0x3f763a35, v30
	v_add_f32_e32 v19, v83, v19
	v_mov_b32_e32 v83, v82
	v_fma_f32 v82, v15, s5, -v82
	v_fmac_f32_e32 v83, 0xbe8c1d8e, v15
	v_add_f32_e32 v20, v82, v20
	v_mul_f32_e32 v82, 0x3eb8f4ab, v30
	v_add_f32_e32 v46, v83, v46
	v_mov_b32_e32 v83, v82
	v_fma_f32 v82, v15, s6, -v82
	v_fmac_f32_e32 v83, 0x3f6eb680, v15
	v_add_f32_e32 v47, v82, v47
	v_mul_f32_e32 v82, 0xbf65296c, v30
	v_add_f32_e32 v48, v83, v48
	v_mov_b32_e32 v83, v82
	v_fma_f32 v82, v15, s3, -v82
	v_fmac_f32_e32 v83, 0x3ee437d1, v15
	v_add_f32_e32 v73, v82, v73
	v_mul_f32_e32 v82, 0xbf06c442, v30
	v_add_f32_e32 v76, v83, v76
	v_mov_b32_e32 v83, v82
	v_fma_f32 v82, v15, s10, -v82
	v_fmac_f32_e32 v83, 0xbf59a7d5, v15
	v_add_f32_e32 v77, v82, v77
	v_mul_f32_e32 v82, 0x3f4c4adb, v30
	v_add_f32_e32 v78, v83, v78
	v_mov_b32_e32 v83, v82
	v_fma_f32 v82, v15, s7, -v82
	v_mul_f32_e32 v30, 0x3f2c7751, v30
	v_fma_f32 v45, v102, v89, -v90
	;; [unrolled: 51-line block ×4, first 2 shown]
	v_add_f32_e32 v79, v82, v79
	v_mov_b32_e32 v82, v30
	v_fmac_f32_e32 v83, 0xbf7ba420, v15
	v_fmac_f32_e32 v82, 0x3ee437d1, v15
	v_fma_f32 v15, v15, s3, -v30
	v_sub_f32_e32 v30, v27, v28
	v_add_f32_e32 v81, v82, v81
	v_add_f32_e32 v14, v15, v14
	;; [unrolled: 1-line block ×3, first 2 shown]
	v_mul_f32_e32 v82, 0xbf06c442, v30
	v_add_f32_e32 v80, v83, v80
	v_mov_b32_e32 v83, v82
	v_fma_f32 v82, v15, s10, -v82
	v_fmac_f32_e32 v83, 0xbf59a7d5, v15
	v_add_f32_e32 v16, v82, v16
	v_mul_f32_e32 v82, 0x3f65296c, v30
	v_add_f32_e32 v17, v83, v17
	v_mov_b32_e32 v83, v82
	v_fma_f32 v82, v15, s3, -v82
	v_fmac_f32_e32 v83, 0x3ee437d1, v15
	v_add_f32_e32 v18, v82, v18
	;; [unrolled: 6-line block ×6, first 2 shown]
	v_mul_f32_e32 v82, 0x3f2c7751, v30
	v_add_f32_e32 v78, v83, v78
	v_mov_b32_e32 v83, v82
	v_fma_f32 v82, v15, s4, -v82
	v_mul_f32_e32 v30, 0xbf763a35, v30
	v_add_f32_e32 v79, v82, v79
	v_mov_b32_e32 v82, v30
	v_fmac_f32_e32 v82, 0xbe8c1d8e, v15
	v_fmac_f32_e32 v83, 0x3f3d2fb0, v15
	v_add_f32_e32 v81, v82, v81
	v_fma_f32 v15, v15, s5, -v30
	v_sub_f32_e32 v82, v23, v24
	v_add_f32_e32 v14, v15, v14
	v_add_f32_e32 v15, v21, v22
	v_mul_f32_e32 v30, 0xbe3c28d5, v82
	v_add_f32_e32 v80, v83, v80
	v_mov_b32_e32 v83, v30
	v_fma_f32 v30, v15, s11, -v30
	v_fmac_f32_e32 v83, 0xbf7ba420, v15
	v_add_f32_e32 v30, v30, v16
	v_mul_f32_e32 v16, 0x3eb8f4ab, v82
	v_add_f32_e32 v17, v83, v17
	v_mov_b32_e32 v83, v16
	v_fma_f32 v16, v15, s6, -v16
	v_fmac_f32_e32 v83, 0x3f6eb680, v15
	;; [unrolled: 6-line block ×3, first 2 shown]
	v_add_f32_e32 v18, v18, v20
	v_mul_f32_e32 v20, 0x3f2c7751, v82
	v_add_f32_e32 v13, v13, v66
	v_add_f32_e32 v46, v83, v46
	v_mov_b32_e32 v83, v20
	v_fma_f32 v20, v15, s4, -v20
	v_add_f32_e32 v13, v13, v51
	v_fmac_f32_e32 v83, 0x3f3d2fb0, v15
	v_add_f32_e32 v20, v20, v47
	v_mul_f32_e32 v47, 0xbf4c4adb, v82
	v_add_f32_e32 v13, v13, v43
	v_add_f32_e32 v48, v83, v48
	v_mov_b32_e32 v83, v47
	v_fma_f32 v47, v15, s7, -v47
	v_add_f32_e32 v13, v13, v35
	v_fmac_f32_e32 v83, 0xbf1a4643, v15
	;; [unrolled: 8-line block ×3, first 2 shown]
	v_add_f32_e32 v77, v73, v77
	v_mul_f32_e32 v73, 0xbf763a35, v82
	v_add_f32_e32 v13, v13, v21
	v_add_f32_e32 v78, v83, v78
	v_mov_b32_e32 v83, v73
	v_fma_f32 v73, v15, s5, -v73
	v_add_f32_e32 v13, v13, v22
	v_add_f32_e32 v79, v73, v79
	v_mul_f32_e32 v73, 0x3f7ee86f, v82
	v_add_f32_e32 v13, v13, v26
	v_mov_b32_e32 v82, v73
	v_add_f32_e32 v13, v13, v32
	v_fmac_f32_e32 v83, 0xbe8c1d8e, v15
	v_fmac_f32_e32 v82, 0x3dbcf732, v15
	v_fma_f32 v15, v15, s2, -v73
	v_add_f32_e32 v13, v13, v38
	v_add_f32_e32 v14, v15, v14
	v_mov_b32_e32 v15, 0x908
	v_cmp_lt_u32_e64 s[2:3], 33, v0
	v_add_f32_e32 v13, v13, v49
	v_cndmask_b32_e64 v15, 0, v15, s[2:3]
	v_add_f32_e32 v13, v13, v63
	v_add_u32_e32 v15, 0, v15
	v_add_f32_e32 v13, v13, v70
	v_add3_u32 v62, v15, v44, v62
	v_add_f32_e32 v13, v13, v74
	v_add_f32_e32 v81, v82, v81
	v_add_u32_e32 v73, 0x400, v62
	v_add_f32_e32 v80, v83, v80
	ds_write2_b32 v62, v13, v17 offset1:34
	ds_write2_b32 v62, v19, v46 offset0:68 offset1:102
	ds_write2_b32 v62, v48, v76 offset0:136 offset1:170
	;; [unrolled: 1-line block ×7, first 2 shown]
	ds_write_b32 v62, v30 offset:2176
	s_waitcnt lgkmcnt(0)
	s_barrier
	ds_read2_b32 v[13:14], v42 offset0:66 offset1:134
	ds_read2_b32 v[15:16], v40 offset0:74 offset1:142
	;; [unrolled: 1-line block ×4, first 2 shown]
	ds_read_b32 v36, v54
	ds_read_b32 v39, v55
	ds_read_b32 v40, v56
	ds_read_b32 v42, v57
	ds_read_b32 v44, v58
	ds_read_b32 v46, v59
	ds_read_b32 v47, v60
	ds_read_b32 v48, v61
	s_and_saveexec_b64 s[2:3], s[0:1]
	s_cbranch_execz .LBB0_22
; %bb.21:
	ds_read_b32 v30, v11
	ds_read_b32 v37, v2 offset:4488
.LBB0_22:
	s_or_b64 exec, exec, s[2:3]
	v_add_f32_e32 v76, v64, v72
	v_add_f32_e32 v76, v76, v68
	;; [unrolled: 1-line block ×16, first 2 shown]
	v_sub_f32_e32 v69, v69, v74
	v_mul_f32_e32 v74, 0x3f6eb680, v72
	v_mul_f32_e32 v77, 0x3f3d2fb0, v72
	;; [unrolled: 1-line block ×8, first 2 shown]
	v_add_f32_e32 v76, v76, v75
	v_mov_b32_e32 v75, v74
	v_mov_b32_e32 v78, v77
	;; [unrolled: 1-line block ×8, first 2 shown]
	v_add_f32_e32 v68, v68, v71
	v_fmac_f32_e32 v75, 0x3eb8f4ab, v69
	v_fmac_f32_e32 v74, 0xbeb8f4ab, v69
	;; [unrolled: 1-line block ×16, first 2 shown]
	v_sub_f32_e32 v66, v66, v70
	v_mul_f32_e32 v69, 0x3f3d2fb0, v68
	v_add_f32_e32 v74, v64, v74
	v_mov_b32_e32 v70, v69
	v_fmac_f32_e32 v69, 0xbf2c7751, v66
	v_mul_f32_e32 v71, 0x3dbcf732, v68
	v_add_f32_e32 v75, v64, v75
	v_add_f32_e32 v78, v64, v78
	;; [unrolled: 1-line block ×15, first 2 shown]
	v_fmac_f32_e32 v70, 0x3f2c7751, v66
	v_add_f32_e32 v69, v69, v74
	v_mov_b32_e32 v72, v71
	v_fmac_f32_e32 v71, 0xbf7ee86f, v66
	v_mul_f32_e32 v74, 0xbf1a4643, v68
	v_add_f32_e32 v70, v70, v75
	v_fmac_f32_e32 v72, 0x3f7ee86f, v66
	v_add_f32_e32 v71, v71, v77
	v_mov_b32_e32 v75, v74
	v_fmac_f32_e32 v74, 0xbf4c4adb, v66
	v_mul_f32_e32 v77, 0xbf7ba420, v68
	v_add_f32_e32 v72, v72, v78
	;; [unrolled: 6-line block ×4, first 2 shown]
	v_fmac_f32_e32 v80, 0xbf06c442, v66
	v_add_f32_e32 v79, v79, v83
	v_mov_b32_e32 v82, v81
	v_fmac_f32_e32 v81, 0x3f763a35, v66
	v_mul_f32_e32 v83, 0x3ee437d1, v68
	v_mul_f32_e32 v68, 0x3f6eb680, v68
	v_add_f32_e32 v65, v65, v67
	v_add_f32_e32 v80, v80, v84
	;; [unrolled: 1-line block ×3, first 2 shown]
	v_mov_b32_e32 v84, v83
	v_mov_b32_e32 v85, v68
	v_sub_f32_e32 v51, v51, v63
	v_mul_f32_e32 v63, 0x3ee437d1, v65
	v_fmac_f32_e32 v82, 0xbf763a35, v66
	v_fmac_f32_e32 v84, 0xbf65296c, v66
	v_fmac_f32_e32 v83, 0x3f65296c, v66
	v_fmac_f32_e32 v85, 0xbeb8f4ab, v66
	v_fmac_f32_e32 v68, 0x3eb8f4ab, v66
	v_mov_b32_e32 v66, v63
	v_fmac_f32_e32 v63, 0xbf65296c, v51
	v_mul_f32_e32 v67, 0xbf1a4643, v65
	v_add_f32_e32 v64, v68, v64
	v_fmac_f32_e32 v66, 0x3f65296c, v51
	v_add_f32_e32 v63, v63, v69
	v_mov_b32_e32 v68, v67
	v_fmac_f32_e32 v67, 0xbf4c4adb, v51
	v_mul_f32_e32 v69, 0xbf7ba420, v65
	v_add_f32_e32 v66, v66, v70
	v_fmac_f32_e32 v68, 0x3f4c4adb, v51
	v_add_f32_e32 v67, v67, v71
	;; [unrolled: 6-line block ×3, first 2 shown]
	v_mov_b32_e32 v72, v71
	v_fmac_f32_e32 v71, 0x3f763a35, v51
	v_mul_f32_e32 v74, 0x3f3d2fb0, v65
	v_add_f32_e32 v50, v50, v52
	v_add_f32_e32 v70, v70, v75
	v_fmac_f32_e32 v72, 0xbf763a35, v51
	v_add_f32_e32 v71, v71, v77
	v_mov_b32_e32 v75, v74
	v_fmac_f32_e32 v74, 0x3f2c7751, v51
	v_mul_f32_e32 v77, 0x3f6eb680, v65
	v_sub_f32_e32 v43, v43, v49
	v_mul_f32_e32 v49, 0x3dbcf732, v50
	v_add_f32_e32 v72, v72, v78
	v_fmac_f32_e32 v75, 0xbf2c7751, v51
	v_add_f32_e32 v74, v74, v79
	v_mov_b32_e32 v78, v77
	v_fmac_f32_e32 v77, 0xbeb8f4ab, v51
	v_mul_f32_e32 v79, 0x3dbcf732, v65
	v_mul_f32_e32 v65, 0xbf59a7d5, v65
	v_mov_b32_e32 v52, v49
	v_fmac_f32_e32 v49, 0xbf7ee86f, v43
	v_add_f32_e32 v75, v75, v80
	v_add_f32_e32 v77, v77, v81
	v_mov_b32_e32 v80, v79
	v_mov_b32_e32 v81, v65
	v_fmac_f32_e32 v65, 0xbf06c442, v51
	v_add_f32_e32 v49, v49, v63
	v_mul_f32_e32 v63, 0xbf7ba420, v50
	v_fmac_f32_e32 v78, 0x3eb8f4ab, v51
	v_fmac_f32_e32 v80, 0x3f7ee86f, v51
	v_fmac_f32_e32 v79, 0xbf7ee86f, v51
	v_fmac_f32_e32 v81, 0x3f06c442, v51
	v_add_f32_e32 v51, v65, v64
	v_fmac_f32_e32 v52, 0x3f7ee86f, v43
	v_mov_b32_e32 v64, v63
	v_fmac_f32_e32 v63, 0xbe3c28d5, v43
	v_mul_f32_e32 v65, 0xbe8c1d8e, v50
	v_add_f32_e32 v52, v52, v66
	v_fmac_f32_e32 v64, 0x3e3c28d5, v43
	v_add_f32_e32 v63, v63, v67
	v_mov_b32_e32 v66, v65
	v_fmac_f32_e32 v65, 0x3f763a35, v43
	v_mul_f32_e32 v67, 0x3f6eb680, v50
	v_add_f32_e32 v64, v64, v68
	v_fmac_f32_e32 v66, 0xbf763a35, v43
	v_add_f32_e32 v65, v65, v69
	v_mov_b32_e32 v68, v67
	v_fmac_f32_e32 v67, 0x3eb8f4ab, v43
	v_mul_f32_e32 v69, 0x3ee437d1, v50
	v_add_f32_e32 v41, v41, v45
	v_add_f32_e32 v66, v66, v70
	v_fmac_f32_e32 v68, 0xbeb8f4ab, v43
	v_add_f32_e32 v67, v67, v71
	v_mov_b32_e32 v70, v69
	v_fmac_f32_e32 v69, 0xbf65296c, v43
	v_mul_f32_e32 v71, 0xbf59a7d5, v50
	v_sub_f32_e32 v35, v35, v38
	v_mul_f32_e32 v38, 0xbe8c1d8e, v41
	v_add_f32_e32 v68, v68, v72
	v_fmac_f32_e32 v70, 0x3f65296c, v43
	v_add_f32_e32 v69, v69, v74
	v_mov_b32_e32 v72, v71
	v_fmac_f32_e32 v71, 0xbf06c442, v43
	v_mul_f32_e32 v74, 0xbf1a4643, v50
	v_mul_f32_e32 v50, 0x3f3d2fb0, v50
	v_mov_b32_e32 v45, v38
	v_fmac_f32_e32 v38, 0xbf763a35, v35
	v_add_f32_e32 v70, v70, v75
	v_add_f32_e32 v71, v71, v77
	v_mov_b32_e32 v75, v74
	v_mov_b32_e32 v77, v50
	v_fmac_f32_e32 v50, 0x3f2c7751, v43
	v_add_f32_e32 v38, v38, v49
	v_mul_f32_e32 v49, 0xbf59a7d5, v41
	v_fmac_f32_e32 v72, 0x3f06c442, v43
	v_fmac_f32_e32 v75, 0xbf4c4adb, v43
	v_fmac_f32_e32 v74, 0x3f4c4adb, v43
	v_fmac_f32_e32 v77, 0xbf2c7751, v43
	v_add_f32_e32 v43, v50, v51
	v_fmac_f32_e32 v45, 0x3f763a35, v35
	v_mov_b32_e32 v50, v49
	v_fmac_f32_e32 v49, 0x3f06c442, v35
	v_mul_f32_e32 v51, 0x3f3d2fb0, v41
	v_add_f32_e32 v45, v45, v52
	v_fmac_f32_e32 v50, 0xbf06c442, v35
	v_add_f32_e32 v49, v49, v63
	v_mov_b32_e32 v52, v51
	v_fmac_f32_e32 v51, 0x3f2c7751, v35
	v_mul_f32_e32 v63, 0x3ee437d1, v41
	v_add_f32_e32 v50, v50, v64
	v_fmac_f32_e32 v52, 0xbf2c7751, v35
	v_add_f32_e32 v51, v51, v65
	;; [unrolled: 46-line block ×3, first 2 shown]
	v_mov_b32_e32 v50, v49
	v_fmac_f32_e32 v49, 0xbf06c442, v31
	v_mul_f32_e32 v51, 0x3dbcf732, v33
	v_add_f32_e32 v27, v27, v28
	v_add_f32_e32 v45, v45, v52
	v_fmac_f32_e32 v50, 0x3f06c442, v31
	v_add_f32_e32 v49, v49, v63
	v_mov_b32_e32 v52, v51
	v_fmac_f32_e32 v51, 0x3f7ee86f, v31
	v_mul_f32_e32 v63, 0x3f3d2fb0, v33
	v_sub_f32_e32 v25, v25, v26
	v_mul_f32_e32 v26, 0xbf59a7d5, v27
	v_add_f32_e32 v50, v50, v64
	v_fmac_f32_e32 v52, 0xbf7ee86f, v31
	v_add_f32_e32 v51, v51, v65
	v_mov_b32_e32 v64, v63
	v_fmac_f32_e32 v63, 0xbf2c7751, v31
	v_mul_f32_e32 v65, 0xbf7ba420, v33
	v_mul_f32_e32 v33, 0x3ee437d1, v33
	v_mov_b32_e32 v28, v26
	v_fmac_f32_e32 v26, 0xbf06c442, v25
	v_add_f32_e32 v52, v52, v66
	v_add_f32_e32 v63, v63, v67
	v_mov_b32_e32 v66, v65
	v_mov_b32_e32 v67, v33
	v_fmac_f32_e32 v33, 0x3f65296c, v31
	v_fmac_f32_e32 v28, 0x3f06c442, v25
	v_add_f32_e32 v26, v26, v32
	v_mul_f32_e32 v32, 0x3ee437d1, v27
	v_fmac_f32_e32 v64, 0x3f2c7751, v31
	v_fmac_f32_e32 v66, 0x3e3c28d5, v31
	v_fmac_f32_e32 v65, 0xbe3c28d5, v31
	v_fmac_f32_e32 v67, 0xbf65296c, v31
	v_add_f32_e32 v31, v33, v35
	v_add_f32_e32 v28, v28, v34
	v_mov_b32_e32 v33, v32
	v_fmac_f32_e32 v32, 0x3f65296c, v25
	v_mul_f32_e32 v34, 0x3dbcf732, v27
	v_fmac_f32_e32 v33, 0xbf65296c, v25
	v_add_f32_e32 v32, v32, v38
	v_mov_b32_e32 v35, v34
	v_fmac_f32_e32 v34, 0xbf7ee86f, v25
	v_mul_f32_e32 v38, 0xbf1a4643, v27
	v_add_f32_e32 v33, v33, v41
	v_fmac_f32_e32 v35, 0x3f7ee86f, v25
	v_add_f32_e32 v34, v34, v43
	v_mov_b32_e32 v41, v38
	v_fmac_f32_e32 v38, 0x3f4c4adb, v25
	v_mul_f32_e32 v43, 0x3f6eb680, v27
	v_add_f32_e32 v35, v35, v45
	;; [unrolled: 6-line block ×3, first 2 shown]
	v_add_f32_e32 v41, v41, v50
	v_fmac_f32_e32 v45, 0x3eb8f4ab, v25
	v_add_f32_e32 v43, v43, v51
	v_mov_b32_e32 v50, v49
	v_fmac_f32_e32 v49, 0xbe3c28d5, v25
	v_mul_f32_e32 v51, 0x3f3d2fb0, v27
	v_mul_f32_e32 v27, 0xbe8c1d8e, v27
	v_sub_f32_e32 v21, v21, v22
	v_mul_f32_e32 v22, 0xbf7ba420, v23
	v_add_f32_e32 v45, v45, v52
	v_add_f32_e32 v49, v49, v63
	v_mov_b32_e32 v52, v51
	v_mov_b32_e32 v63, v27
	v_fmac_f32_e32 v27, 0xbf763a35, v25
	v_mov_b32_e32 v24, v22
	v_fmac_f32_e32 v22, 0xbe3c28d5, v21
	v_fmac_f32_e32 v50, 0x3e3c28d5, v25
	;; [unrolled: 1-line block ×5, first 2 shown]
	v_add_f32_e32 v25, v27, v31
	v_add_f32_e32 v31, v22, v26
	v_mul_f32_e32 v22, 0x3f6eb680, v23
	v_fmac_f32_e32 v24, 0x3e3c28d5, v21
	v_mov_b32_e32 v26, v22
	v_fmac_f32_e32 v22, 0x3eb8f4ab, v21
	v_mul_f32_e32 v27, 0xbf59a7d5, v23
	v_add_f32_e32 v82, v82, v86
	v_add_f32_e32 v84, v84, v88
	v_add_f32_e32 v83, v83, v87
	v_add_f32_e32 v85, v85, v89
	v_add_f32_e32 v24, v24, v28
	v_fmac_f32_e32 v26, 0xbeb8f4ab, v21
	v_add_f32_e32 v22, v22, v32
	v_mov_b32_e32 v28, v27
	v_fmac_f32_e32 v27, 0xbf06c442, v21
	v_mul_f32_e32 v32, 0x3f3d2fb0, v23
	v_add_f32_e32 v78, v78, v82
	v_add_f32_e32 v80, v80, v84
	v_add_f32_e32 v79, v79, v83
	v_add_f32_e32 v81, v81, v85
	v_add_f32_e32 v26, v26, v33
	v_fmac_f32_e32 v28, 0x3f06c442, v21
	v_add_f32_e32 v27, v27, v34
	;; [unrolled: 10-line block ×4, first 2 shown]
	v_mov_b32_e32 v41, v38
	v_fmac_f32_e32 v38, 0x3f65296c, v21
	v_mul_f32_e32 v43, 0xbe8c1d8e, v23
	v_mul_f32_e32 v23, 0x3dbcf732, v23
	v_add_f32_e32 v64, v64, v68
	v_add_f32_e32 v66, v66, v70
	;; [unrolled: 1-line block ×6, first 2 shown]
	v_mov_b32_e32 v45, v43
	v_mov_b32_e32 v49, v23
	v_fmac_f32_e32 v23, 0x3f7ee86f, v21
	v_add_f32_e32 v50, v50, v64
	v_add_f32_e32 v52, v52, v66
	;; [unrolled: 1-line block ×4, first 2 shown]
	v_fmac_f32_e32 v41, 0xbf65296c, v21
	v_fmac_f32_e32 v45, 0x3f763a35, v21
	;; [unrolled: 1-line block ×4, first 2 shown]
	v_add_f32_e32 v21, v23, v25
	v_add_f32_e32 v41, v41, v50
	;; [unrolled: 1-line block ×5, first 2 shown]
	s_waitcnt lgkmcnt(0)
	s_barrier
	ds_write2_b32 v62, v76, v24 offset1:34
	ds_write2_b32 v62, v26, v28 offset0:68 offset1:102
	ds_write2_b32 v62, v33, v35 offset0:136 offset1:170
	;; [unrolled: 1-line block ×7, first 2 shown]
	ds_write_b32 v62, v31 offset:2176
	v_add_u32_e32 v21, 0x800, v2
	v_add_u32_e32 v23, 0xa00, v2
	;; [unrolled: 1-line block ×4, first 2 shown]
	s_waitcnt lgkmcnt(0)
	s_barrier
	ds_read2_b32 v[21:22], v21 offset0:66 offset1:134
	ds_read2_b32 v[23:24], v23 offset0:74 offset1:142
	ds_read2_b32 v[25:26], v25 offset0:82 offset1:150
	ds_read2_b32 v[27:28], v27 offset0:90 offset1:158
	ds_read_b32 v32, v54
	ds_read_b32 v33, v55
	;; [unrolled: 1-line block ×8, first 2 shown]
	s_and_saveexec_b64 s[2:3], s[0:1]
	s_cbranch_execz .LBB0_24
; %bb.23:
	ds_read_b32 v31, v11
	ds_read_b32 v29, v2 offset:4488
	v_mov_b32_e32 v12, v53
.LBB0_24:
	s_or_b64 exec, exec, s[2:3]
	s_and_saveexec_b64 s[2:3], vcc
	s_cbranch_execz .LBB0_27
; %bb.25:
	v_mov_b32_e32 v2, 0
	v_lshlrev_b64 v[49:50], 3, v[1:2]
	v_mov_b32_e32 v59, s9
	v_add_co_u32_e32 v1, vcc, s8, v49
	v_addc_co_u32_e32 v11, vcc, v59, v50, vcc
	v_add_co_u32_e32 v49, vcc, 0x1000, v1
	v_addc_co_u32_e32 v50, vcc, 0, v11, vcc
	v_mov_b32_e32 v11, v2
	v_lshlrev_b64 v[10:11], 3, v[10:11]
	s_movk_i32 s2, 0x1000
	v_add_co_u32_e32 v1, vcc, s8, v10
	v_addc_co_u32_e32 v11, vcc, v59, v11, vcc
	v_add_co_u32_e32 v10, vcc, s2, v1
	v_addc_co_u32_e32 v11, vcc, 0, v11, vcc
	global_load_dwordx2 v[51:52], v[49:50], off offset:392
	global_load_dwordx2 v[53:54], v[10:11], off offset:392
	v_mov_b32_e32 v10, v2
	v_lshlrev_b64 v[9:10], 3, v[9:10]
	v_add_co_u32_e32 v1, vcc, s8, v9
	v_addc_co_u32_e32 v9, vcc, v59, v10, vcc
	v_add_co_u32_e32 v10, vcc, s2, v1
	v_addc_co_u32_e32 v11, vcc, 0, v9, vcc
	v_mov_b32_e32 v9, v2
	v_lshlrev_b64 v[8:9], 3, v[8:9]
	v_add_co_u32_e32 v1, vcc, s8, v8
	v_addc_co_u32_e32 v9, vcc, v59, v9, vcc
	v_add_co_u32_e32 v8, vcc, s2, v1
	v_addc_co_u32_e32 v9, vcc, 0, v9, vcc
	global_load_dwordx2 v[49:50], v[10:11], off offset:392
	global_load_dwordx2 v[55:56], v[8:9], off offset:392
	v_mov_b32_e32 v8, v2
	v_lshlrev_b64 v[7:8], 3, v[7:8]
	v_add_co_u32_e32 v1, vcc, s8, v7
	v_addc_co_u32_e32 v8, vcc, v59, v8, vcc
	v_add_co_u32_e32 v7, vcc, s2, v1
	v_addc_co_u32_e32 v8, vcc, 0, v8, vcc
	global_load_dwordx2 v[8:9], v[7:8], off offset:392
	v_mov_b32_e32 v7, v2
	v_lshlrev_b64 v[6:7], 3, v[6:7]
	v_add_co_u32_e32 v1, vcc, s8, v6
	v_addc_co_u32_e32 v7, vcc, v59, v7, vcc
	v_add_co_u32_e32 v6, vcc, s2, v1
	v_addc_co_u32_e32 v7, vcc, 0, v7, vcc
	global_load_dwordx2 v[10:11], v[6:7], off offset:392
	v_mov_b32_e32 v6, v2
	v_lshlrev_b64 v[5:6], 3, v[5:6]
	v_add_co_u32_e32 v1, vcc, s8, v5
	v_addc_co_u32_e32 v6, vcc, v59, v6, vcc
	v_add_co_u32_e32 v5, vcc, s2, v1
	v_mov_b32_e32 v1, v2
	v_addc_co_u32_e32 v6, vcc, 0, v6, vcc
	v_lshlrev_b64 v[57:58], 3, v[0:1]
	global_load_dwordx2 v[5:6], v[5:6], off offset:392
	v_add_co_u32_e32 v1, vcc, s8, v57
	v_addc_co_u32_e32 v7, vcc, v59, v58, vcc
	v_add_co_u32_e32 v57, vcc, s2, v1
	v_addc_co_u32_e32 v58, vcc, 0, v7, vcc
	global_load_dwordx2 v[57:58], v[57:58], off offset:392
	s_waitcnt vmcnt(7)
	v_mul_f32_e32 v1, v20, v52
	s_waitcnt lgkmcnt(8)
	v_fma_f32 v1, v28, v51, -v1
	s_waitcnt lgkmcnt(0)
	v_sub_f32_e32 v60, v45, v1
	v_mul_f32_e32 v1, v28, v52
	v_fmac_f32_e32 v1, v20, v51
	v_sub_f32_e32 v59, v48, v1
	s_waitcnt vmcnt(6)
	v_mul_f32_e32 v1, v19, v54
	v_fma_f32 v1, v27, v53, -v1
	v_sub_f32_e32 v20, v43, v1
	v_mul_f32_e32 v1, v27, v54
	v_fmac_f32_e32 v1, v19, v53
	v_sub_f32_e32 v19, v47, v1
	v_fma_f32 v61, v48, 2.0, -v59
	v_fma_f32 v27, v47, 2.0, -v19
	;; [unrolled: 1-line block ×4, first 2 shown]
	s_waitcnt vmcnt(5)
	v_mul_f32_e32 v1, v18, v50
	v_fma_f32 v1, v26, v49, -v1
	v_sub_f32_e32 v48, v41, v1
	v_mul_f32_e32 v1, v26, v50
	v_fmac_f32_e32 v1, v18, v49
	v_sub_f32_e32 v47, v46, v1
	s_waitcnt vmcnt(4)
	v_mul_f32_e32 v1, v17, v56
	v_fma_f32 v1, v25, v55, -v1
	v_sub_f32_e32 v18, v38, v1
	v_mul_f32_e32 v1, v25, v56
	v_fmac_f32_e32 v1, v17, v55
	v_sub_f32_e32 v17, v44, v1
	v_fma_f32 v25, v44, 2.0, -v17
	s_waitcnt vmcnt(3)
	v_mul_f32_e32 v1, v16, v9
	v_fma_f32 v1, v24, v8, -v1
	v_sub_f32_e32 v44, v35, v1
	v_mul_f32_e32 v1, v24, v9
	v_fmac_f32_e32 v1, v16, v8
	v_sub_f32_e32 v43, v42, v1
	v_fma_f32 v50, v46, 2.0, -v47
	v_fma_f32 v46, v35, 2.0, -v44
	;; [unrolled: 1-line block ×5, first 2 shown]
	s_waitcnt vmcnt(2)
	v_mul_f32_e32 v1, v15, v11
	v_fma_f32 v1, v23, v10, -v1
	v_sub_f32_e32 v8, v34, v1
	v_mul_f32_e32 v1, v23, v11
	v_fmac_f32_e32 v1, v15, v10
	v_sub_f32_e32 v7, v40, v1
	v_fma_f32 v16, v34, 2.0, -v8
	v_fma_f32 v15, v40, 2.0, -v7
	s_waitcnt vmcnt(1)
	v_mul_f32_e32 v1, v14, v6
	v_fma_f32 v1, v22, v5, -v1
	v_sub_f32_e32 v10, v33, v1
	v_mul_f32_e32 v1, v22, v6
	v_fmac_f32_e32 v1, v14, v5
	v_mad_u64_u32 v[5:6], s[2:3], s12, v0, 0
	v_sub_f32_e32 v9, v39, v1
	v_fma_f32 v23, v33, 2.0, -v10
	s_waitcnt vmcnt(0)
	v_mul_f32_e32 v1, v13, v58
	v_fma_f32 v1, v21, v57, -v1
	v_sub_f32_e32 v14, v32, v1
	v_mov_b32_e32 v1, v6
	v_mad_u64_u32 v[34:35], s[2:3], s13, v0, v[1:2]
	v_mul_f32_e32 v11, v21, v58
	v_fmac_f32_e32 v11, v13, v57
	v_sub_f32_e32 v13, v36, v11
	v_mov_b32_e32 v6, v34
	v_mov_b32_e32 v11, s15
	v_add_co_u32_e32 v1, vcc, s14, v3
	v_addc_co_u32_e32 v3, vcc, v11, v4, vcc
	v_lshlrev_b64 v[4:5], 3, v[5:6]
	v_add_u32_e32 v6, 0x242, v0
	v_mad_u64_u32 v[34:35], s[2:3], s12, v6, 0
	v_add_co_u32_e32 v4, vcc, v1, v4
	v_fma_f32 v33, v32, 2.0, -v14
	v_fma_f32 v32, v36, 2.0, -v13
	v_addc_co_u32_e32 v5, vcc, v3, v5, vcc
	global_store_dwordx2 v[4:5], v[32:33], off
	v_mov_b32_e32 v4, v35
	v_mad_u64_u32 v[4:5], s[2:3], s13, v6, v[4:5]
	v_add_u32_e32 v11, 0x44, v0
	v_mad_u64_u32 v[5:6], s[2:3], s12, v11, 0
	v_mov_b32_e32 v35, v4
	v_lshlrev_b64 v[32:33], 3, v[34:35]
	v_mov_b32_e32 v4, v6
	v_add_co_u32_e32 v32, vcc, v1, v32
	v_mad_u64_u32 v[34:35], s[4:5], s13, v11, v[4:5]
	v_addc_co_u32_e32 v33, vcc, v3, v33, vcc
	v_add_u32_e32 v11, 0x286, v0
	global_store_dwordx2 v[32:33], v[13:14], off
	v_mad_u64_u32 v[13:14], s[4:5], s12, v11, 0
	v_mov_b32_e32 v6, v34
	v_lshlrev_b64 v[4:5], 3, v[5:6]
	v_mov_b32_e32 v6, v14
	v_mad_u64_u32 v[32:33], s[4:5], s13, v11, v[6:7]
	v_add_u32_e32 v11, 0x88, v0
	v_add_co_u32_e32 v4, vcc, v1, v4
	v_mad_u64_u32 v[33:34], s[4:5], s12, v11, 0
	v_fma_f32 v22, v39, 2.0, -v9
	v_addc_co_u32_e32 v5, vcc, v3, v5, vcc
	v_mov_b32_e32 v14, v32
	global_store_dwordx2 v[4:5], v[22:23], off
	v_lshlrev_b64 v[4:5], 3, v[13:14]
	v_mov_b32_e32 v6, v34
	v_add_co_u32_e32 v4, vcc, v1, v4
	v_mad_u64_u32 v[13:14], s[4:5], s13, v11, v[6:7]
	v_addc_co_u32_e32 v5, vcc, v3, v5, vcc
	v_add_u32_e32 v11, 0x2ca, v0
	global_store_dwordx2 v[4:5], v[9:10], off
	v_mad_u64_u32 v[9:10], s[4:5], s12, v11, 0
	v_mov_b32_e32 v34, v13
	v_lshlrev_b64 v[4:5], 3, v[33:34]
	v_mov_b32_e32 v6, v10
	v_mad_u64_u32 v[10:11], s[4:5], s13, v11, v[6:7]
	v_add_co_u32_e32 v4, vcc, v1, v4
	v_addc_co_u32_e32 v5, vcc, v3, v5, vcc
	v_add_u32_e32 v11, 0xcc, v0
	v_mad_u64_u32 v[13:14], s[4:5], s12, v11, 0
	global_store_dwordx2 v[4:5], v[15:16], off
	v_lshlrev_b64 v[4:5], 3, v[9:10]
	v_mov_b32_e32 v6, v14
	v_add_co_u32_e32 v4, vcc, v1, v4
	v_addc_co_u32_e32 v5, vcc, v3, v5, vcc
	global_store_dwordx2 v[4:5], v[7:8], off
	v_add_u32_e32 v8, 0x30e, v0
	v_mad_u64_u32 v[9:10], s[4:5], s13, v11, v[6:7]
	v_mad_u64_u32 v[6:7], s[4:5], s12, v8, 0
	v_mov_b32_e32 v14, v9
	v_add_u32_e32 v10, 0x110, v0
	v_mad_u64_u32 v[7:8], s[4:5], s13, v8, v[7:8]
	v_lshlrev_b64 v[4:5], 3, v[13:14]
	v_mad_u64_u32 v[8:9], s[4:5], s12, v10, 0
	v_add_co_u32_e32 v4, vcc, v1, v4
	v_addc_co_u32_e32 v5, vcc, v3, v5, vcc
	global_store_dwordx2 v[4:5], v[45:46], off
	v_lshlrev_b64 v[4:5], 3, v[6:7]
	v_mov_b32_e32 v6, v9
	v_mad_u64_u32 v[6:7], s[4:5], s13, v10, v[6:7]
	v_add_co_u32_e32 v4, vcc, v1, v4
	v_addc_co_u32_e32 v5, vcc, v3, v5, vcc
	v_mov_b32_e32 v9, v6
	global_store_dwordx2 v[4:5], v[43:44], off
	v_lshlrev_b64 v[4:5], 3, v[8:9]
	v_add_u32_e32 v8, 0x352, v0
	v_mad_u64_u32 v[6:7], s[4:5], s12, v8, 0
	v_add_u32_e32 v10, 0x154, v0
	v_add_co_u32_e32 v4, vcc, v1, v4
	v_mad_u64_u32 v[7:8], s[4:5], s13, v8, v[7:8]
	v_mad_u64_u32 v[8:9], s[4:5], s12, v10, 0
	v_addc_co_u32_e32 v5, vcc, v3, v5, vcc
	global_store_dwordx2 v[4:5], v[25:26], off
	v_lshlrev_b64 v[4:5], 3, v[6:7]
	v_mov_b32_e32 v6, v9
	v_mad_u64_u32 v[6:7], s[4:5], s13, v10, v[6:7]
	v_add_co_u32_e32 v4, vcc, v1, v4
	v_addc_co_u32_e32 v5, vcc, v3, v5, vcc
	v_mov_b32_e32 v9, v6
	global_store_dwordx2 v[4:5], v[17:18], off
	v_lshlrev_b64 v[4:5], 3, v[8:9]
	v_add_u32_e32 v8, 0x396, v0
	v_mad_u64_u32 v[6:7], s[4:5], s12, v8, 0
	v_add_u32_e32 v9, 0x198, v0
	s_mov_b32 s3, 0xe2c4a689
	v_mul_hi_u32 v10, v9, s3
	v_mad_u64_u32 v[7:8], s[4:5], s13, v8, v[7:8]
	s_movk_i32 s2, 0x242
	v_lshrrev_b32_e32 v8, 9, v10
	v_mad_u32_u24 v10, v8, s2, v9
	v_mad_u64_u32 v[8:9], s[4:5], s12, v10, 0
	v_add_co_u32_e32 v4, vcc, v1, v4
	v_addc_co_u32_e32 v5, vcc, v3, v5, vcc
	global_store_dwordx2 v[4:5], v[50:51], off
	v_lshlrev_b64 v[4:5], 3, v[6:7]
	v_mov_b32_e32 v6, v9
	v_mad_u64_u32 v[6:7], s[4:5], s13, v10, v[6:7]
	v_add_co_u32_e32 v4, vcc, v1, v4
	v_addc_co_u32_e32 v5, vcc, v3, v5, vcc
	v_mov_b32_e32 v9, v6
	global_store_dwordx2 v[4:5], v[47:48], off
	v_lshlrev_b64 v[4:5], 3, v[8:9]
	v_add_u32_e32 v8, 0x242, v10
	v_mad_u64_u32 v[6:7], s[4:5], s12, v8, 0
	v_add_co_u32_e32 v4, vcc, v1, v4
	v_mad_u64_u32 v[7:8], s[4:5], s13, v8, v[7:8]
	v_add_u32_e32 v8, 0x1dc, v0
	v_mul_hi_u32 v9, v8, s3
	v_addc_co_u32_e32 v5, vcc, v3, v5, vcc
	global_store_dwordx2 v[4:5], v[27:28], off
	v_lshlrev_b64 v[4:5], 3, v[6:7]
	v_lshrrev_b32_e32 v6, 9, v9
	v_mad_u32_u24 v9, v6, s2, v8
	v_mad_u64_u32 v[6:7], s[2:3], s12, v9, 0
	v_add_u32_e32 v10, 0x242, v9
	v_add_co_u32_e32 v4, vcc, v1, v4
	v_mad_u64_u32 v[7:8], s[2:3], s13, v9, v[7:8]
	v_mad_u64_u32 v[8:9], s[2:3], s12, v10, 0
	v_addc_co_u32_e32 v5, vcc, v3, v5, vcc
	global_store_dwordx2 v[4:5], v[19:20], off
	v_lshlrev_b64 v[4:5], 3, v[6:7]
	v_mov_b32_e32 v6, v9
	v_mad_u64_u32 v[6:7], s[2:3], s13, v10, v[6:7]
	v_add_co_u32_e32 v4, vcc, v1, v4
	v_addc_co_u32_e32 v5, vcc, v3, v5, vcc
	v_mov_b32_e32 v9, v6
	global_store_dwordx2 v[4:5], v[61:62], off
	v_lshlrev_b64 v[4:5], 3, v[8:9]
	v_add_co_u32_e32 v4, vcc, v1, v4
	v_addc_co_u32_e32 v5, vcc, v3, v5, vcc
	global_store_dwordx2 v[4:5], v[59:60], off
	s_and_b64 exec, exec, s[0:1]
	s_cbranch_execz .LBB0_27
; %bb.26:
	v_mov_b32_e32 v13, v2
	v_lshlrev_b64 v[4:5], 3, v[12:13]
	v_mov_b32_e32 v2, s9
	v_add_co_u32_e32 v4, vcc, s8, v4
	v_addc_co_u32_e32 v2, vcc, v2, v5, vcc
	v_add_co_u32_e32 v4, vcc, 0x1000, v4
	v_addc_co_u32_e32 v5, vcc, 0, v2, vcc
	global_load_dwordx2 v[4:5], v[4:5], off offset:392
	v_add_u32_e32 v10, 0x220, v0
	v_add_u32_e32 v11, 0x462, v0
	v_mad_u64_u32 v[6:7], s[0:1], s12, v10, 0
	v_mad_u64_u32 v[8:9], s[0:1], s12, v11, 0
	v_mov_b32_e32 v0, v7
	v_mov_b32_e32 v2, v9
	v_mad_u64_u32 v[9:10], s[0:1], s13, v10, v[0:1]
	v_mad_u64_u32 v[10:11], s[0:1], s13, v11, v[2:3]
	v_mov_b32_e32 v7, v9
	v_lshlrev_b64 v[6:7], 3, v[6:7]
	v_mov_b32_e32 v9, v10
	v_lshlrev_b64 v[8:9], 3, v[8:9]
	v_add_co_u32_e32 v6, vcc, v1, v6
	v_addc_co_u32_e32 v7, vcc, v3, v7, vcc
	v_add_co_u32_e32 v0, vcc, v1, v8
	v_addc_co_u32_e32 v1, vcc, v3, v9, vcc
	s_waitcnt vmcnt(0)
	v_mul_f32_e32 v2, v29, v5
	v_mul_f32_e32 v3, v37, v5
	v_fmac_f32_e32 v2, v37, v4
	v_fma_f32 v3, v29, v4, -v3
	v_sub_f32_e32 v2, v30, v2
	v_sub_f32_e32 v3, v31, v3
	v_fma_f32 v4, v30, 2.0, -v2
	v_fma_f32 v5, v31, 2.0, -v3
	global_store_dwordx2 v[6:7], v[4:5], off
	global_store_dwordx2 v[0:1], v[2:3], off
.LBB0_27:
	s_endpgm
	.section	.rodata,"a",@progbits
	.p2align	6, 0x0
	.amdhsa_kernel fft_rtc_back_len1156_factors_17_2_17_2_wgs_204_tpt_68_halfLds_sp_ip_CI_sbrr_dirReg
		.amdhsa_group_segment_fixed_size 0
		.amdhsa_private_segment_fixed_size 0
		.amdhsa_kernarg_size 88
		.amdhsa_user_sgpr_count 6
		.amdhsa_user_sgpr_private_segment_buffer 1
		.amdhsa_user_sgpr_dispatch_ptr 0
		.amdhsa_user_sgpr_queue_ptr 0
		.amdhsa_user_sgpr_kernarg_segment_ptr 1
		.amdhsa_user_sgpr_dispatch_id 0
		.amdhsa_user_sgpr_flat_scratch_init 0
		.amdhsa_user_sgpr_private_segment_size 0
		.amdhsa_uses_dynamic_stack 0
		.amdhsa_system_sgpr_private_segment_wavefront_offset 0
		.amdhsa_system_sgpr_workgroup_id_x 1
		.amdhsa_system_sgpr_workgroup_id_y 0
		.amdhsa_system_sgpr_workgroup_id_z 0
		.amdhsa_system_sgpr_workgroup_info 0
		.amdhsa_system_vgpr_workitem_id 0
		.amdhsa_next_free_vgpr 111
		.amdhsa_next_free_sgpr 24
		.amdhsa_reserve_vcc 1
		.amdhsa_reserve_flat_scratch 0
		.amdhsa_float_round_mode_32 0
		.amdhsa_float_round_mode_16_64 0
		.amdhsa_float_denorm_mode_32 3
		.amdhsa_float_denorm_mode_16_64 3
		.amdhsa_dx10_clamp 1
		.amdhsa_ieee_mode 1
		.amdhsa_fp16_overflow 0
		.amdhsa_exception_fp_ieee_invalid_op 0
		.amdhsa_exception_fp_denorm_src 0
		.amdhsa_exception_fp_ieee_div_zero 0
		.amdhsa_exception_fp_ieee_overflow 0
		.amdhsa_exception_fp_ieee_underflow 0
		.amdhsa_exception_fp_ieee_inexact 0
		.amdhsa_exception_int_div_zero 0
	.end_amdhsa_kernel
	.text
.Lfunc_end0:
	.size	fft_rtc_back_len1156_factors_17_2_17_2_wgs_204_tpt_68_halfLds_sp_ip_CI_sbrr_dirReg, .Lfunc_end0-fft_rtc_back_len1156_factors_17_2_17_2_wgs_204_tpt_68_halfLds_sp_ip_CI_sbrr_dirReg
                                        ; -- End function
	.section	.AMDGPU.csdata,"",@progbits
; Kernel info:
; codeLenInByte = 16672
; NumSgprs: 28
; NumVgprs: 111
; ScratchSize: 0
; MemoryBound: 0
; FloatMode: 240
; IeeeMode: 1
; LDSByteSize: 0 bytes/workgroup (compile time only)
; SGPRBlocks: 3
; VGPRBlocks: 27
; NumSGPRsForWavesPerEU: 28
; NumVGPRsForWavesPerEU: 111
; Occupancy: 2
; WaveLimiterHint : 1
; COMPUTE_PGM_RSRC2:SCRATCH_EN: 0
; COMPUTE_PGM_RSRC2:USER_SGPR: 6
; COMPUTE_PGM_RSRC2:TRAP_HANDLER: 0
; COMPUTE_PGM_RSRC2:TGID_X_EN: 1
; COMPUTE_PGM_RSRC2:TGID_Y_EN: 0
; COMPUTE_PGM_RSRC2:TGID_Z_EN: 0
; COMPUTE_PGM_RSRC2:TIDIG_COMP_CNT: 0
	.type	__hip_cuid_ecacf4ae051d8311,@object ; @__hip_cuid_ecacf4ae051d8311
	.section	.bss,"aw",@nobits
	.globl	__hip_cuid_ecacf4ae051d8311
__hip_cuid_ecacf4ae051d8311:
	.byte	0                               ; 0x0
	.size	__hip_cuid_ecacf4ae051d8311, 1

	.ident	"AMD clang version 19.0.0git (https://github.com/RadeonOpenCompute/llvm-project roc-6.4.0 25133 c7fe45cf4b819c5991fe208aaa96edf142730f1d)"
	.section	".note.GNU-stack","",@progbits
	.addrsig
	.addrsig_sym __hip_cuid_ecacf4ae051d8311
	.amdgpu_metadata
---
amdhsa.kernels:
  - .args:
      - .actual_access:  read_only
        .address_space:  global
        .offset:         0
        .size:           8
        .value_kind:     global_buffer
      - .offset:         8
        .size:           8
        .value_kind:     by_value
      - .actual_access:  read_only
        .address_space:  global
        .offset:         16
        .size:           8
        .value_kind:     global_buffer
      - .actual_access:  read_only
        .address_space:  global
        .offset:         24
        .size:           8
        .value_kind:     global_buffer
      - .offset:         32
        .size:           8
        .value_kind:     by_value
      - .actual_access:  read_only
        .address_space:  global
        .offset:         40
        .size:           8
        .value_kind:     global_buffer
      - .actual_access:  read_only
        .address_space:  global
        .offset:         48
        .size:           8
        .value_kind:     global_buffer
      - .offset:         56
        .size:           4
        .value_kind:     by_value
      - .actual_access:  read_only
        .address_space:  global
        .offset:         64
        .size:           8
        .value_kind:     global_buffer
      - .actual_access:  read_only
        .address_space:  global
        .offset:         72
        .size:           8
        .value_kind:     global_buffer
      - .address_space:  global
        .offset:         80
        .size:           8
        .value_kind:     global_buffer
    .group_segment_fixed_size: 0
    .kernarg_segment_align: 8
    .kernarg_segment_size: 88
    .language:       OpenCL C
    .language_version:
      - 2
      - 0
    .max_flat_workgroup_size: 204
    .name:           fft_rtc_back_len1156_factors_17_2_17_2_wgs_204_tpt_68_halfLds_sp_ip_CI_sbrr_dirReg
    .private_segment_fixed_size: 0
    .sgpr_count:     28
    .sgpr_spill_count: 0
    .symbol:         fft_rtc_back_len1156_factors_17_2_17_2_wgs_204_tpt_68_halfLds_sp_ip_CI_sbrr_dirReg.kd
    .uniform_work_group_size: 1
    .uses_dynamic_stack: false
    .vgpr_count:     111
    .vgpr_spill_count: 0
    .wavefront_size: 64
amdhsa.target:   amdgcn-amd-amdhsa--gfx906
amdhsa.version:
  - 1
  - 2
...

	.end_amdgpu_metadata
